;; amdgpu-corpus repo=ROCm/rocFFT kind=compiled arch=gfx90a opt=O3
	.text
	.amdgcn_target "amdgcn-amd-amdhsa--gfx90a"
	.amdhsa_code_object_version 6
	.protected	bluestein_single_back_len595_dim1_dp_op_CI_CI ; -- Begin function bluestein_single_back_len595_dim1_dp_op_CI_CI
	.globl	bluestein_single_back_len595_dim1_dp_op_CI_CI
	.p2align	8
	.type	bluestein_single_back_len595_dim1_dp_op_CI_CI,@function
bluestein_single_back_len595_dim1_dp_op_CI_CI: ; @bluestein_single_back_len595_dim1_dp_op_CI_CI
; %bb.0:
	s_load_dwordx4 s[16:19], s[4:5], 0x28
	v_mul_u32_u24_e32 v1, 0xf10, v0
	s_mov_b64 s[62:63], s[2:3]
	v_lshrrev_b32_e32 v2, 16, v1
	s_mov_b64 s[60:61], s[0:1]
	v_mad_u64_u32 v[18:19], s[0:1], s6, 3, v[2:3]
	s_add_u32 s60, s60, s7
	v_mov_b32_e32 v19, 0
	s_addc_u32 s61, s61, 0
	s_waitcnt lgkmcnt(0)
	v_cmp_gt_u64_e32 vcc, s[16:17], v[18:19]
	s_and_saveexec_b64 s[0:1], vcc
	s_cbranch_execz .LBB0_10
; %bb.1:
	s_load_dwordx4 s[8:11], s[4:5], 0x18
	v_mul_lo_u16_e32 v1, 17, v2
	v_sub_u16_e32 v208, v0, v1
	v_lshlrev_b32_e32 v13, 4, v208
	v_mov_b32_e32 v12, 0x550
	s_waitcnt lgkmcnt(0)
	s_load_dwordx4 s[12:15], s[8:9], 0x0
	s_load_dwordx4 s[0:3], s[4:5], 0x0
	s_mov_b32 s8, 0xaaaaaaab
	v_mul_hi_u32 v10, v18, s8
	v_lshrrev_b32_e32 v10, 1, v10
	s_waitcnt lgkmcnt(0)
	v_mad_u64_u32 v[0:1], s[6:7], s14, v18, 0
	v_mov_b32_e32 v4, v1
	v_mad_u64_u32 v[2:3], s[6:7], s12, v208, 0
	v_mad_u64_u32 v[4:5], s[6:7], s15, v18, v[4:5]
	v_mov_b32_e32 v6, v3
	v_mov_b32_e32 v1, v4
	v_mad_u64_u32 v[4:5], s[6:7], s13, v208, v[6:7]
	v_lshlrev_b64 v[0:1], 4, v[0:1]
	v_mov_b32_e32 v3, v4
	v_mov_b32_e32 v4, s19
	v_add_co_u32_e32 v14, vcc, s18, v0
	v_addc_co_u32_e32 v15, vcc, v4, v1, vcc
	v_lshlrev_b64 v[0:1], 4, v[2:3]
	v_add_co_u32_e32 v4, vcc, v14, v0
	v_addc_co_u32_e32 v5, vcc, v15, v1, vcc
	global_load_dwordx4 v[0:3], v[4:5], off
	global_load_dwordx4 v[50:53], v13, s[0:1]
	v_mad_u64_u32 v[8:9], s[6:7], s12, v12, v[4:5]
	v_lshl_add_u32 v10, v10, 1, v10
	s_mul_i32 s6, s13, 0x550
	v_sub_u32_e32 v10, v18, v10
	v_mov_b32_e32 v11, s1
	v_add_co_u32_e32 v17, vcc, s0, v13
	v_add_u32_e32 v9, s6, v9
	s_movk_i32 s7, 0x1000
	v_mul_u32_u24_e32 v10, 0x253, v10
	v_addc_co_u32_e32 v64, vcc, 0, v11, vcc
	global_load_dwordx4 v[46:49], v13, s[0:1] offset:1360
	global_load_dwordx4 v[4:7], v[8:9], off
	v_lshlrev_b32_e32 v211, 4, v10
	v_add_co_u32_e32 v10, vcc, s7, v17
	v_mad_u64_u32 v[8:9], s[14:15], s12, v12, v[8:9]
	v_addc_co_u32_e32 v11, vcc, 0, v64, vcc
	v_add_u32_e32 v9, s6, v9
	v_accvgpr_write_b32 a34, v18
	s_load_dwordx4 s[8:11], s[10:11], 0x0
	global_load_dwordx4 v[84:87], v13, s[0:1] offset:2720
	global_load_dwordx4 v[80:83], v13, s[0:1] offset:4080
	;; [unrolled: 1-line block ×4, first 2 shown]
	global_load_dwordx4 v[140:143], v[10:11], off offset:1344
	global_load_dwordx4 v[18:21], v[8:9], off
	global_load_dwordx4 v[120:123], v[10:11], off offset:2704
	global_load_dwordx4 v[108:111], v[10:11], off offset:4064
	v_mad_u64_u32 v[8:9], s[14:15], s12, v12, v[8:9]
	v_add_u32_e32 v9, s6, v9
	v_mad_u64_u32 v[30:31], s[14:15], s12, v12, v[8:9]
	v_add_u32_e32 v31, s6, v31
	global_load_dwordx4 v[22:25], v[8:9], off
	global_load_dwordx4 v[26:29], v[30:31], off
	v_mad_u64_u32 v[8:9], s[14:15], s12, v12, v[30:31]
	v_add_u32_e32 v9, s6, v9
	global_load_dwordx4 v[30:33], v[8:9], off
	v_mad_u64_u32 v[8:9], s[14:15], s12, v12, v[8:9]
	v_mov_b32_e32 v16, 0xffffe130
	s_mul_i32 s7, s13, 0xffffe130
	v_add_u32_e32 v9, s6, v9
	s_sub_i32 s7, s7, s12
	global_load_dwordx4 v[34:37], v[8:9], off
	v_mad_u64_u32 v[8:9], s[14:15], s12, v16, v[8:9]
	v_add_u32_e32 v9, s7, v9
	global_load_dwordx4 v[38:41], v[8:9], off
	v_add_u32_e32 v210, v13, v211
	s_mov_b32 s24, 0xaaaaaaaa
	s_mov_b32 s25, 0xbff2aaaa
	;; [unrolled: 1-line block ×14, first 2 shown]
	s_load_dwordx2 s[4:5], s[4:5], 0x38
	s_waitcnt vmcnt(15)
	v_mul_f64 v[42:43], v[2:3], v[52:53]
	v_mul_f64 v[44:45], v[0:1], v[52:53]
	v_fmac_f64_e32 v[42:43], v[0:1], v[50:51]
	buffer_store_dword v50, off, s[60:63], 0 offset:552 ; 4-byte Folded Spill
	s_nop 0
	buffer_store_dword v51, off, s[60:63], 0 offset:556 ; 4-byte Folded Spill
	buffer_store_dword v52, off, s[60:63], 0 offset:560 ; 4-byte Folded Spill
	s_waitcnt vmcnt(16)
	v_mul_f64 v[0:1], v[4:5], v[48:49]
	s_waitcnt vmcnt(10)
	v_mul_f64 v[66:67], v[20:21], v[86:87]
	v_fmac_f64_e32 v[66:67], v[18:19], v[84:85]
	v_mul_f64 v[18:19], v[18:19], v[86:87]
	v_fma_f64 v[44:45], v[2:3], v[50:51], -v[44:45]
	v_mul_f64 v[2:3], v[6:7], v[48:49]
	ds_write_b128 v210, v[42:45]
	v_fmac_f64_e32 v[2:3], v[4:5], v[46:47]
	buffer_store_dword v46, off, s[60:63], 0 offset:20 ; 4-byte Folded Spill
	s_nop 0
	buffer_store_dword v47, off, s[60:63], 0 offset:24 ; 4-byte Folded Spill
	buffer_store_dword v48, off, s[60:63], 0 offset:28 ; 4-byte Folded Spill
	;; [unrolled: 1-line block ×3, first 2 shown]
	v_accvgpr_write_b32 a221, v53           ;  Reload Reuse
	v_fma_f64 v[4:5], v[6:7], v[46:47], -v[0:1]
	v_mad_u64_u32 v[0:1], s[14:15], s12, v12, v[8:9]
	v_add_u32_e32 v1, s6, v1
	global_load_dwordx4 v[6:9], v[0:1], off
	global_load_dwordx4 v[136:139], v13, s[0:1] offset:1632
	v_mad_u64_u32 v[0:1], s[14:15], s12, v12, v[0:1]
	v_add_u32_e32 v1, s6, v1
	global_load_dwordx4 v[42:45], v[0:1], off
	global_load_dwordx4 v[132:135], v13, s[0:1] offset:2992
	v_mad_u64_u32 v[0:1], s[14:15], s12, v12, v[0:1]
	v_add_u32_e32 v1, s6, v1
	global_load_dwordx4 v[46:49], v[0:1], off
	global_load_dwordx4 v[128:131], v[10:11], off offset:256
	v_mad_u64_u32 v[0:1], s[14:15], s12, v12, v[0:1]
	v_add_u32_e32 v1, s6, v1
	global_load_dwordx4 v[50:53], v[0:1], off
	global_load_dwordx4 v[124:127], v[10:11], off offset:1616
	v_mad_u64_u32 v[0:1], s[14:15], s12, v12, v[0:1]
	v_add_u32_e32 v1, s6, v1
	v_mad_u64_u32 v[62:63], s[14:15], s12, v12, v[0:1]
	v_add_u32_e32 v63, s6, v63
	s_movk_i32 s14, 0x2000
	global_load_dwordx4 v[54:57], v[0:1], off
	global_load_dwordx4 v[116:119], v[10:11], off offset:2976
	global_load_dwordx4 v[58:61], v[62:63], off
	v_add_co_u32_e32 v0, vcc, s14, v17
	v_mad_u64_u32 v[62:63], s[14:15], s12, v16, v[62:63]
	v_add_u32_e32 v63, s7, v63
	v_mad_u64_u32 v[68:69], s[14:15], s12, v12, v[62:63]
	v_add_u32_e32 v69, s6, v69
	v_mad_u64_u32 v[74:75], s[14:15], s12, v12, v[68:69]
	v_addc_co_u32_e32 v1, vcc, 0, v64, vcc
	ds_write_b128 v210, v[2:5] offset:1360
	v_add_u32_e32 v75, s6, v75
	global_load_dwordx4 v[112:115], v[0:1], off offset:240
	global_load_dwordx4 v[2:5], v[62:63], off
	global_load_dwordx4 v[104:107], v13, s[0:1] offset:544
	s_nop 0
	global_load_dwordx4 v[62:65], v[68:69], off
	global_load_dwordx4 v[100:103], v13, s[0:1] offset:1904
	global_load_dwordx4 v[70:73], v[74:75], off
	global_load_dwordx4 v[96:99], v13, s[0:1] offset:3264
	s_nop 0
	buffer_store_dword v84, off, s[60:63], 0 offset:344 ; 4-byte Folded Spill
	s_nop 0
	buffer_store_dword v85, off, s[60:63], 0 offset:348 ; 4-byte Folded Spill
	buffer_store_dword v86, off, s[60:63], 0 offset:352 ; 4-byte Folded Spill
	;; [unrolled: 1-line block ×3, first 2 shown]
	v_mad_u64_u32 v[74:75], s[14:15], s12, v12, v[74:75]
	v_add_u32_e32 v75, s6, v75
	v_or_b32_e32 v17, 0x220, v208
	v_fma_f64 v[68:69], v[20:21], v[84:85], -v[18:19]
	ds_write_b128 v210, v[66:69] offset:2720
	s_waitcnt vmcnt(33)
	v_mul_f64 v[66:67], v[24:25], v[82:83]
	global_load_dwordx4 v[18:21], v[74:75], off
	global_load_dwordx4 v[92:95], v[10:11], off offset:528
	global_load_dwordx4 v[84:87], v13, s[0:1] offset:3808
	v_fmac_f64_e32 v[66:67], v[22:23], v[80:81]
	v_mul_f64 v[22:23], v[22:23], v[82:83]
	buffer_store_dword v80, off, s[60:63], 0 offset:408 ; 4-byte Folded Spill
	s_nop 0
	buffer_store_dword v81, off, s[60:63], 0 offset:412 ; 4-byte Folded Spill
	buffer_store_dword v82, off, s[60:63], 0 offset:416 ; 4-byte Folded Spill
	;; [unrolled: 1-line block ×3, first 2 shown]
	v_fma_f64 v[68:69], v[24:25], v[80:81], -v[22:23]
	s_waitcnt vmcnt(39)
	v_mul_f64 v[22:23], v[28:29], v[142:143]
	ds_write_b128 v210, v[66:69] offset:4080
	v_fmac_f64_e32 v[22:23], v[26:27], v[140:141]
	v_mul_f64 v[24:25], v[26:27], v[142:143]
	buffer_store_dword v140, off, s[60:63], 0 offset:376 ; 4-byte Folded Spill
	s_nop 0
	buffer_store_dword v141, off, s[60:63], 0 offset:380 ; 4-byte Folded Spill
	buffer_store_dword v142, off, s[60:63], 0 offset:384 ; 4-byte Folded Spill
	;; [unrolled: 1-line block ×3, first 2 shown]
	global_load_dwordx4 v[80:83], v[10:11], off offset:2432
	v_mad_u64_u32 v[26:27], s[14:15], s12, v17, 0
	v_fma_f64 v[24:25], v[28:29], v[140:141], -v[24:25]
	ds_write_b128 v210, v[22:25] offset:5440
	s_waitcnt vmcnt(43)
	v_mul_f64 v[22:23], v[32:33], v[122:123]
	v_fmac_f64_e32 v[22:23], v[30:31], v[120:121]
	v_mul_f64 v[24:25], v[30:31], v[122:123]
	buffer_store_dword v120, off, s[60:63], 0 offset:392 ; 4-byte Folded Spill
	s_nop 0
	buffer_store_dword v121, off, s[60:63], 0 offset:396 ; 4-byte Folded Spill
	buffer_store_dword v122, off, s[60:63], 0 offset:400 ; 4-byte Folded Spill
	;; [unrolled: 1-line block ×3, first 2 shown]
	v_mov_b32_e32 v28, v27
	v_mad_u64_u32 v[28:29], s[14:15], s13, v17, v[28:29]
	v_mov_b32_e32 v27, v28
	v_lshlrev_b64 v[26:27], 4, v[26:27]
	v_add_co_u32_e32 v14, vcc, v14, v26
	v_addc_co_u32_e32 v15, vcc, v15, v27, vcc
	s_mulk_i32 s13, 0xe680
	s_sub_i32 s13, s13, s12
	v_add_co_u32_e32 v228, vcc, 17, v208
	v_fma_f64 v[24:25], v[32:33], v[120:121], -v[24:25]
	ds_write_b128 v210, v[22:25] offset:6800
	s_waitcnt vmcnt(46)
	v_mul_f64 v[22:23], v[36:37], v[110:111]
	v_fmac_f64_e32 v[22:23], v[34:35], v[108:109]
	v_mul_f64 v[24:25], v[34:35], v[110:111]
	buffer_store_dword v108, off, s[60:63], 0 offset:360 ; 4-byte Folded Spill
	s_nop 0
	buffer_store_dword v109, off, s[60:63], 0 offset:364 ; 4-byte Folded Spill
	buffer_store_dword v110, off, s[60:63], 0 offset:368 ; 4-byte Folded Spill
	buffer_store_dword v111, off, s[60:63], 0 offset:372 ; 4-byte Folded Spill
	v_fma_f64 v[24:25], v[36:37], v[108:109], -v[24:25]
	ds_write_b128 v210, v[22:25] offset:8160
	s_waitcnt vmcnt(49)
	v_mul_f64 v[22:23], v[40:41], v[78:79]
	v_fmac_f64_e32 v[22:23], v[38:39], v[76:77]
	v_mul_f64 v[24:25], v[38:39], v[78:79]
	buffer_store_dword v76, off, s[60:63], 0 offset:324 ; 4-byte Folded Spill
	s_nop 0
	buffer_store_dword v77, off, s[60:63], 0 offset:328 ; 4-byte Folded Spill
	buffer_store_dword v78, off, s[60:63], 0 offset:332 ; 4-byte Folded Spill
	buffer_store_dword v79, off, s[60:63], 0 offset:336 ; 4-byte Folded Spill
	;; [unrolled: 11-line block ×3, first 2 shown]
	v_fma_f64 v[24:25], v[8:9], v[136:137], -v[6:7]
	s_waitcnt vmcnt(46)
	v_mul_f64 v[6:7], v[44:45], v[134:135]
	ds_write_b128 v210, v[22:25] offset:1632
	v_fmac_f64_e32 v[6:7], v[42:43], v[132:133]
	v_mul_f64 v[8:9], v[42:43], v[134:135]
	buffer_store_dword v132, off, s[60:63], 0 offset:244 ; 4-byte Folded Spill
	s_nop 0
	buffer_store_dword v133, off, s[60:63], 0 offset:248 ; 4-byte Folded Spill
	buffer_store_dword v134, off, s[60:63], 0 offset:252 ; 4-byte Folded Spill
	;; [unrolled: 1-line block ×3, first 2 shown]
	v_mad_u64_u32 v[22:23], s[14:15], s12, v12, v[74:75]
	v_add_u32_e32 v23, s6, v23
	v_fma_f64 v[8:9], v[44:45], v[132:133], -v[8:9]
	ds_write_b128 v210, v[6:9] offset:2992
	s_waitcnt vmcnt(48)
	v_mul_f64 v[6:7], v[48:49], v[130:131]
	v_fmac_f64_e32 v[6:7], v[46:47], v[128:129]
	v_mul_f64 v[8:9], v[46:47], v[130:131]
	buffer_store_dword v128, off, s[60:63], 0 offset:196 ; 4-byte Folded Spill
	s_nop 0
	buffer_store_dword v129, off, s[60:63], 0 offset:200 ; 4-byte Folded Spill
	buffer_store_dword v130, off, s[60:63], 0 offset:204 ; 4-byte Folded Spill
	;; [unrolled: 1-line block ×3, first 2 shown]
	v_fma_f64 v[8:9], v[48:49], v[128:129], -v[8:9]
	ds_write_b128 v210, v[6:9] offset:4352
	s_waitcnt vmcnt(50)
	v_mul_f64 v[6:7], v[52:53], v[126:127]
	v_fmac_f64_e32 v[6:7], v[50:51], v[124:125]
	v_mul_f64 v[8:9], v[50:51], v[126:127]
	buffer_store_dword v124, off, s[60:63], 0 offset:164 ; 4-byte Folded Spill
	s_nop 0
	buffer_store_dword v125, off, s[60:63], 0 offset:168 ; 4-byte Folded Spill
	buffer_store_dword v126, off, s[60:63], 0 offset:172 ; 4-byte Folded Spill
	;; [unrolled: 1-line block ×3, first 2 shown]
	global_load_dwordx4 v[120:123], v[10:11], off offset:3248
	v_fma_f64 v[8:9], v[52:53], v[124:125], -v[8:9]
	ds_write_b128 v210, v[6:9] offset:5712
	s_waitcnt vmcnt(53)
	v_mul_f64 v[6:7], v[56:57], v[118:119]
	v_fmac_f64_e32 v[6:7], v[54:55], v[116:117]
	v_mul_f64 v[8:9], v[54:55], v[118:119]
	buffer_store_dword v116, off, s[60:63], 0 offset:132 ; 4-byte Folded Spill
	s_nop 0
	buffer_store_dword v117, off, s[60:63], 0 offset:136 ; 4-byte Folded Spill
	buffer_store_dword v118, off, s[60:63], 0 offset:140 ; 4-byte Folded Spill
	;; [unrolled: 1-line block ×3, first 2 shown]
	v_fma_f64 v[8:9], v[56:57], v[116:117], -v[8:9]
	ds_write_b128 v210, v[6:9] offset:7072
	s_waitcnt vmcnt(55)
	v_mul_f64 v[6:7], v[60:61], v[114:115]
	v_fmac_f64_e32 v[6:7], v[58:59], v[112:113]
	v_mul_f64 v[8:9], v[58:59], v[114:115]
	buffer_store_dword v112, off, s[60:63], 0 offset:100 ; 4-byte Folded Spill
	s_nop 0
	buffer_store_dword v113, off, s[60:63], 0 offset:104 ; 4-byte Folded Spill
	buffer_store_dword v114, off, s[60:63], 0 offset:108 ; 4-byte Folded Spill
	;; [unrolled: 1-line block ×3, first 2 shown]
	global_load_dwordx4 v[116:119], v13, s[0:1] offset:816
	v_fma_f64 v[8:9], v[60:61], v[112:113], -v[8:9]
	ds_write_b128 v210, v[6:9] offset:8432
	s_waitcnt vmcnt(58)
	v_mul_f64 v[6:7], v[4:5], v[106:107]
	v_fmac_f64_e32 v[6:7], v[2:3], v[104:105]
	v_mul_f64 v[2:3], v[2:3], v[106:107]
	buffer_store_dword v104, off, s[60:63], 0 offset:84 ; 4-byte Folded Spill
	s_nop 0
	buffer_store_dword v105, off, s[60:63], 0 offset:88 ; 4-byte Folded Spill
	buffer_store_dword v106, off, s[60:63], 0 offset:92 ; 4-byte Folded Spill
	;; [unrolled: 1-line block ×3, first 2 shown]
	v_fma_f64 v[8:9], v[4:5], v[104:105], -v[2:3]
	s_waitcnt vmcnt(60)
	v_mul_f64 v[2:3], v[64:65], v[102:103]
	ds_write_b128 v210, v[6:9] offset:544
	v_fmac_f64_e32 v[2:3], v[62:63], v[100:101]
	v_mul_f64 v[4:5], v[62:63], v[102:103]
	buffer_store_dword v100, off, s[60:63], 0 offset:68 ; 4-byte Folded Spill
	s_nop 0
	buffer_store_dword v101, off, s[60:63], 0 offset:72 ; 4-byte Folded Spill
	buffer_store_dword v102, off, s[60:63], 0 offset:76 ; 4-byte Folded Spill
	;; [unrolled: 1-line block ×3, first 2 shown]
	global_load_dwordx4 v[112:115], v13, s[0:1] offset:3536
	v_fma_f64 v[4:5], v[64:65], v[100:101], -v[4:5]
	ds_write_b128 v210, v[2:5] offset:1904
	s_waitcnt vmcnt(62)
	v_mul_f64 v[2:3], v[72:73], v[98:99]
	v_fmac_f64_e32 v[2:3], v[70:71], v[96:97]
	v_mul_f64 v[4:5], v[70:71], v[98:99]
	buffer_store_dword v96, off, s[60:63], 0 offset:36 ; 4-byte Folded Spill
	s_nop 0
	buffer_store_dword v97, off, s[60:63], 0 offset:40 ; 4-byte Folded Spill
	buffer_store_dword v98, off, s[60:63], 0 offset:44 ; 4-byte Folded Spill
	;; [unrolled: 1-line block ×3, first 2 shown]
	global_load_dwordx4 v[6:9], v[22:23], off
	global_load_dwordx4 v[140:143], v[10:11], off offset:1888
	global_load_dwordx4 v[26:29], v[14:15], off
	v_lshlrev_b32_e32 v14, 4, v17
	v_accvgpr_write_b32 a35, v14
	global_load_dwordx4 v[136:139], v14, s[0:1]
	v_mov_b32_e32 v14, 0xffffe680
	buffer_store_dword v17, off, s[60:63], 0 ; 4-byte Folded Spill
	v_fma_f64 v[4:5], v[72:73], v[96:97], -v[4:5]
	ds_write_b128 v210, v[2:5] offset:3264
	v_mad_u64_u32 v[4:5], s[14:15], s12, v12, v[22:23]
	v_add_u32_e32 v5, s6, v5
	global_load_dwordx4 v[22:25], v[4:5], off
	v_mad_u64_u32 v[4:5], s[14:15], s12, v14, v[4:5]
	v_add_u32_e32 v5, s13, v5
	global_load_dwordx4 v[30:33], v[4:5], off
	;; [unrolled: 3-line block ×3, first 2 shown]
	global_load_dwordx4 v[132:135], v13, s[0:1] offset:2176
	v_mad_u64_u32 v[4:5], s[14:15], s12, v12, v[4:5]
	v_add_u32_e32 v5, s6, v5
	global_load_dwordx4 v[38:41], v[4:5], off
	v_mad_u64_u32 v[4:5], s[14:15], s12, v12, v[4:5]
	v_add_u32_e32 v5, s6, v5
	global_load_dwordx4 v[42:45], v[4:5], off
	global_load_dwordx4 v[128:131], v[10:11], off offset:800
	v_mad_u64_u32 v[4:5], s[14:15], s12, v12, v[4:5]
	v_add_u32_e32 v5, s6, v5
	global_load_dwordx4 v[46:49], v[4:5], off
	global_load_dwordx4 v[124:127], v[10:11], off offset:2160
	v_mad_u64_u32 v[4:5], s[14:15], s12, v12, v[4:5]
	s_waitcnt vmcnt(62)
	v_mul_f64 v[2:3], v[20:21], v[94:95]
	v_add_u32_e32 v5, s6, v5
	v_fmac_f64_e32 v[2:3], v[18:19], v[92:93]
	v_mul_f64 v[14:15], v[18:19], v[94:95]
	v_mad_u64_u32 v[18:19], s[14:15], s12, v12, v[4:5]
	v_add_u32_e32 v19, s6, v19
	global_load_dwordx4 v[50:53], v[4:5], off
	global_load_dwordx4 v[108:111], v[10:11], off offset:3520
	global_load_dwordx4 v[54:57], v[18:19], off
	global_load_dwordx4 v[104:107], v[0:1], off offset:784
	s_nop 0
	buffer_store_dword v92, off, s[60:63], 0 offset:308 ; 4-byte Folded Spill
	s_nop 0
	buffer_store_dword v93, off, s[60:63], 0 offset:312 ; 4-byte Folded Spill
	buffer_store_dword v94, off, s[60:63], 0 offset:316 ; 4-byte Folded Spill
	;; [unrolled: 1-line block ×3, first 2 shown]
	v_mad_u64_u32 v[18:19], s[14:15], s12, v16, v[18:19]
	v_add_u32_e32 v19, s7, v19
	v_mad_u64_u32 v[58:59], s[14:15], s12, v12, v[18:19]
	v_add_u32_e32 v59, s6, v59
	s_waitcnt vmcnt(20)
	v_mul_f64 v[62:63], v[8:9], v[142:143]
	v_fmac_f64_e32 v[62:63], v[6:7], v[140:141]
	v_fma_f64 v[4:5], v[20:21], v[92:93], -v[14:15]
	global_load_dwordx4 v[14:17], v[18:19], off
	s_nop 0
	global_load_dwordx4 v[18:21], v[58:59], off
	global_load_dwordx4 v[100:103], v13, s[0:1] offset:2448
	v_mad_u64_u32 v[58:59], s[14:15], s12, v12, v[58:59]
	v_add_u32_e32 v59, s6, v59
	v_mad_u64_u32 v[64:65], s[14:15], s12, v12, v[58:59]
	ds_write_b128 v210, v[2:5] offset:4624
	v_add_u32_e32 v65, s6, v65
	global_load_dwordx4 v[2:5], v[58:59], off
	s_nop 0
	global_load_dwordx4 v[58:61], v[64:65], off
	global_load_dwordx4 v[74:77], v[10:11], off offset:1072
	v_mad_u64_u32 v[64:65], s[14:15], s12, v12, v[64:65]
	v_add_u32_e32 v65, s6, v65
	global_load_dwordx4 v[66:69], v[64:65], off
	v_mad_u64_u32 v[64:65], s[14:15], s12, v12, v[64:65]
	v_add_u32_e32 v65, s6, v65
	global_load_dwordx4 v[70:73], v[64:65], off
	global_load_dwordx4 v[92:95], v[10:11], off offset:3792
	v_mad_u64_u32 v[10:11], s[12:13], s12, v12, v[64:65]
	v_add_u32_e32 v11, s6, v11
	global_load_dwordx4 v[10:13], v[10:11], off
	s_nop 0
	global_load_dwordx4 v[96:99], v[0:1], off offset:1056
	v_mul_f64 v[0:1], v[6:7], v[142:143]
	buffer_store_dword v140, off, s[60:63], 0 offset:536 ; 4-byte Folded Spill
	s_nop 0
	buffer_store_dword v141, off, s[60:63], 0 offset:540 ; 4-byte Folded Spill
	buffer_store_dword v142, off, s[60:63], 0 offset:544 ; 4-byte Folded Spill
	;; [unrolled: 1-line block ×3, first 2 shown]
	s_waitcnt vmcnt(31)
	v_mul_f64 v[6:7], v[24:25], v[122:123]
	v_fmac_f64_e32 v[6:7], v[22:23], v[120:121]
	s_mov_b32 s6, 0x36b3c0b5
	s_mov_b32 s7, 0x3fac98ee
	;; [unrolled: 1-line block ×6, first 2 shown]
	v_fma_f64 v[64:65], v[8:9], v[140:141], -v[0:1]
	ds_write_b128 v210, v[62:65] offset:5984
	v_mul_f64 v[0:1], v[22:23], v[122:123]
	buffer_store_dword v120, off, s[60:63], 0 offset:520 ; 4-byte Folded Spill
	s_nop 0
	buffer_store_dword v121, off, s[60:63], 0 offset:524 ; 4-byte Folded Spill
	buffer_store_dword v122, off, s[60:63], 0 offset:528 ; 4-byte Folded Spill
	;; [unrolled: 1-line block ×3, first 2 shown]
	v_fma_f64 v[8:9], v[24:25], v[120:121], -v[0:1]
	ds_write_b128 v210, v[6:9] offset:7344
	v_mul_f64 v[6:7], v[28:29], v[138:139]
	v_fmac_f64_e32 v[6:7], v[26:27], v[136:137]
	v_mul_f64 v[0:1], v[26:27], v[138:139]
	buffer_store_dword v136, off, s[60:63], 0 offset:504 ; 4-byte Folded Spill
	s_nop 0
	buffer_store_dword v137, off, s[60:63], 0 offset:508 ; 4-byte Folded Spill
	buffer_store_dword v138, off, s[60:63], 0 offset:512 ; 4-byte Folded Spill
	buffer_store_dword v139, off, s[60:63], 0 offset:516 ; 4-byte Folded Spill
	v_fma_f64 v[8:9], v[28:29], v[136:137], -v[0:1]
	ds_write_b128 v210, v[6:9] offset:8704
	s_waitcnt vmcnt(38)
	v_mul_f64 v[6:7], v[32:33], v[118:119]
	v_fmac_f64_e32 v[6:7], v[30:31], v[116:117]
	v_mul_f64 v[0:1], v[30:31], v[118:119]
	buffer_store_dword v116, off, s[60:63], 0 offset:488 ; 4-byte Folded Spill
	s_nop 0
	buffer_store_dword v117, off, s[60:63], 0 offset:492 ; 4-byte Folded Spill
	buffer_store_dword v118, off, s[60:63], 0 offset:496 ; 4-byte Folded Spill
	buffer_store_dword v119, off, s[60:63], 0 offset:500 ; 4-byte Folded Spill
	v_fma_f64 v[8:9], v[32:33], v[116:117], -v[0:1]
	ds_write_b128 v210, v[6:9] offset:816
	s_waitcnt vmcnt(40)
	;; [unrolled: 11-line block ×9, first 2 shown]
	v_mul_f64 v[6:7], v[20:21], v[102:103]
	v_fmac_f64_e32 v[6:7], v[18:19], v[100:101]
	v_mul_f64 v[0:1], v[18:19], v[102:103]
	buffer_store_dword v100, off, s[60:63], 0 offset:212 ; 4-byte Folded Spill
	s_nop 0
	buffer_store_dword v101, off, s[60:63], 0 offset:216 ; 4-byte Folded Spill
	buffer_store_dword v102, off, s[60:63], 0 offset:220 ; 4-byte Folded Spill
	;; [unrolled: 1-line block ×3, first 2 shown]
	v_fma_f64 v[8:9], v[20:21], v[100:101], -v[0:1]
	s_waitcnt vmcnt(55)
	v_mul_f64 v[0:1], v[4:5], v[86:87]
	ds_write_b128 v210, v[6:9] offset:2448
	v_fmac_f64_e32 v[0:1], v[2:3], v[84:85]
	v_mul_f64 v[2:3], v[2:3], v[86:87]
	buffer_store_dword v84, off, s[60:63], 0 offset:180 ; 4-byte Folded Spill
	s_nop 0
	buffer_store_dword v85, off, s[60:63], 0 offset:184 ; 4-byte Folded Spill
	buffer_store_dword v86, off, s[60:63], 0 offset:188 ; 4-byte Folded Spill
	buffer_store_dword v87, off, s[60:63], 0 offset:192 ; 4-byte Folded Spill
	v_fma_f64 v[2:3], v[4:5], v[84:85], -v[2:3]
	ds_write_b128 v210, v[0:3] offset:3808
	s_waitcnt vmcnt(57)
	v_mul_f64 v[0:1], v[60:61], v[76:77]
	v_fmac_f64_e32 v[0:1], v[58:59], v[74:75]
	v_mul_f64 v[2:3], v[58:59], v[76:77]
	buffer_store_dword v74, off, s[60:63], 0 offset:148 ; 4-byte Folded Spill
	s_nop 0
	buffer_store_dword v75, off, s[60:63], 0 offset:152 ; 4-byte Folded Spill
	buffer_store_dword v76, off, s[60:63], 0 offset:156 ; 4-byte Folded Spill
	buffer_store_dword v77, off, s[60:63], 0 offset:160 ; 4-byte Folded Spill
	v_fma_f64 v[2:3], v[60:61], v[74:75], -v[2:3]
	ds_write_b128 v210, v[0:3] offset:5168
	s_waitcnt vmcnt(60)
	v_mul_f64 v[0:1], v[68:69], v[82:83]
	;; [unrolled: 11-line block ×4, first 2 shown]
	v_fmac_f64_e32 v[0:1], v[10:11], v[96:97]
	v_mul_f64 v[2:3], v[10:11], v[98:99]
	buffer_store_dword v96, off, s[60:63], 0 offset:4 ; 4-byte Folded Spill
	s_nop 0
	buffer_store_dword v97, off, s[60:63], 0 offset:8 ; 4-byte Folded Spill
	buffer_store_dword v98, off, s[60:63], 0 offset:12 ; 4-byte Folded Spill
	;; [unrolled: 1-line block ×3, first 2 shown]
	v_fma_f64 v[2:3], v[12:13], v[96:97], -v[2:3]
	ds_write_b128 v210, v[0:3] offset:9248
	s_waitcnt lgkmcnt(0)
	; wave barrier
	s_waitcnt lgkmcnt(0)
	ds_read_b128 v[72:75], v210 offset:2720
	ds_read_b128 v[36:39], v210 offset:2992
	;; [unrolled: 1-line block ×24, first 2 shown]
	s_waitcnt lgkmcnt(5)
	v_add_f64 v[80:81], v[88:89], v[84:85]
	v_add_f64 v[82:83], v[90:91], v[86:87]
	v_add_f64 v[84:85], v[88:89], -v[84:85]
	v_add_f64 v[86:87], v[90:91], -v[86:87]
	s_waitcnt lgkmcnt(1)
	v_add_f64 v[94:95], v[72:73], v[100:101]
	v_add_f64 v[92:93], v[74:75], v[102:103]
	v_add_f64 v[90:91], v[72:73], -v[100:101]
	v_add_f64 v[88:89], v[74:75], -v[102:103]
	v_add_f64 v[102:103], v[36:37], v[68:69]
	v_add_f64 v[100:101], v[38:39], v[70:71]
	v_add_f64 v[68:69], v[36:37], -v[68:69]
	v_add_f64 v[36:37], v[38:39], -v[70:71]
	;; [unrolled: 4-line block ×4, first 2 shown]
	ds_read_b128 v[20:23], v210 offset:2176
	ds_read_b128 v[24:27], v210 offset:2448
	v_add_f64 v[132:133], v[32:33], v[28:29]
	v_add_f64 v[130:131], v[34:35], v[30:31]
	v_add_f64 v[128:129], v[32:33], -v[28:29]
	v_add_f64 v[126:127], v[34:35], -v[30:31]
	s_waitcnt lgkmcnt(1)
	v_add_f64 v[104:105], v[20:21], v[40:41]
	v_add_f64 v[106:107], v[22:23], v[42:43]
	v_add_f64 v[108:109], v[20:21], -v[40:41]
	v_add_f64 v[110:111], v[22:23], -v[42:43]
	ds_read_b128 v[20:23], v210 offset:7616
	ds_read_b128 v[28:31], v210 offset:7888
	v_add_f64 v[72:73], v[96:97], v[76:77]
	v_add_f64 v[74:75], v[98:99], v[78:79]
	v_add_f64 v[76:77], v[76:77], -v[96:97]
	s_waitcnt lgkmcnt(1)
	v_add_f64 v[164:165], v[16:17], v[20:21]
	v_add_f64 v[162:163], v[18:19], v[22:23]
	v_add_f64 v[160:161], v[16:17], -v[20:21]
	v_add_f64 v[158:159], v[18:19], -v[22:23]
	ds_read_b128 v[16:19], v210 offset:4896
	ds_read_b128 v[20:23], v210 offset:5168
	s_waitcnt lgkmcnt(2)
	v_add_f64 v[172:173], v[4:5], v[28:29]
	v_add_f64 v[168:169], v[4:5], -v[28:29]
	v_add_f64 v[4:5], v[94:95], v[80:81]
	s_waitcnt lgkmcnt(1)
	v_add_f64 v[150:151], v[16:17], v[12:13]
	s_waitcnt lgkmcnt(0)
	v_add_f64 v[142:143], v[20:21], v[8:9]
	v_add_f64 v[146:147], v[8:9], -v[20:21]
	v_add_f64 v[8:9], v[72:73], v[4:5]
	v_add_f64 v[4:5], v[92:93], v[82:83]
	;; [unrolled: 1-line block ×3, first 2 shown]
	v_add_f64 v[154:155], v[12:13], -v[16:17]
	v_add_f64 v[156:157], v[14:15], -v[18:19]
	ds_read_b128 v[12:15], v210 offset:9248
	v_add_f64 v[170:171], v[6:7], v[30:31]
	v_add_f64 v[166:167], v[6:7], -v[30:31]
	v_add_f64 v[144:145], v[22:23], v[10:11]
	v_add_f64 v[148:149], v[10:11], -v[22:23]
	v_add_f64 v[10:11], v[74:75], v[4:5]
	ds_read_b128 v[4:7], v210
	ds_read_b128 v[20:23], v210 offset:272
	v_add_f64 v[78:79], v[78:79], -v[98:99]
	s_waitcnt lgkmcnt(2)
	v_add_f64 v[134:135], v[24:25], v[12:13]
	v_add_f64 v[136:137], v[26:27], v[14:15]
	s_waitcnt lgkmcnt(1)
	v_add_f64 v[4:5], v[4:5], v[8:9]
	v_add_f64 v[6:7], v[6:7], v[10:11]
	v_add_f64 v[138:139], v[24:25], -v[12:13]
	v_add_f64 v[140:141], v[26:27], -v[14:15]
	v_pk_mov_b32 v[24:25], v[4:5], v[4:5] op_sel:[0,1]
	v_pk_mov_b32 v[26:27], v[6:7], v[6:7] op_sel:[0,1]
	v_fmac_f64_e32 v[24:25], s[24:25], v[8:9]
	v_fmac_f64_e32 v[26:27], s[24:25], v[10:11]
	v_add_f64 v[28:29], v[72:73], -v[94:95]
	v_add_f64 v[30:31], v[74:75], -v[92:93]
	v_add_f64 v[8:9], v[76:77], v[90:91]
	v_add_f64 v[10:11], v[76:77], -v[90:91]
	v_add_f64 v[14:15], v[78:79], -v[88:89]
	;; [unrolled: 1-line block ×5, first 2 shown]
	v_add_f64 v[12:13], v[78:79], v[88:89]
	v_add_f64 v[34:35], v[88:89], -v[86:87]
	v_add_f64 v[38:39], v[8:9], v[84:85]
	v_mul_f64 v[42:43], v[10:11], s[28:29]
	v_mul_f64 v[44:45], v[14:15], s[28:29]
	;; [unrolled: 1-line block ×4, first 2 shown]
	v_add_f64 v[40:41], v[12:13], v[86:87]
	v_fma_f64 v[8:9], v[16:17], s[26:27], -v[8:9]
	v_fma_f64 v[10:11], v[18:19], s[26:27], -v[10:11]
	;; [unrolled: 1-line block ×4, first 2 shown]
	v_add_f64 v[8:9], v[8:9], v[24:25]
	v_add_f64 v[10:11], v[10:11], v[26:27]
	v_fmac_f64_e32 v[46:47], s[12:13], v[38:39]
	v_fmac_f64_e32 v[52:53], s[12:13], v[40:41]
	v_add_f64 v[12:13], v[8:9], -v[52:53]
	v_add_f64 v[14:15], v[46:47], v[10:11]
	v_add_f64 v[8:9], v[8:9], v[52:53]
	v_add_f64 v[10:11], v[10:11], -v[46:47]
	v_add_f64 v[46:47], v[80:81], -v[72:73]
	;; [unrolled: 1-line block ×3, first 2 shown]
	v_add_f64 v[96:97], v[60:61], v[56:57]
	v_add_f64 v[98:99], v[62:63], v[58:59]
	v_mul_f64 v[46:47], v[46:47], s[18:19]
	v_mul_f64 v[52:53], v[52:53], s[18:19]
	v_add_f64 v[56:57], v[60:61], -v[56:57]
	v_add_f64 v[58:59], v[62:63], -v[58:59]
	v_add_f64 v[60:61], v[64:65], v[48:49]
	v_add_f64 v[62:63], v[66:67], v[50:51]
	v_add_f64 v[48:49], v[48:49], -v[64:65]
	v_add_f64 v[64:65], v[86:87], -v[78:79]
	v_fma_f64 v[16:17], v[16:17], s[20:21], -v[46:47]
	v_fma_f64 v[18:19], v[18:19], s[20:21], -v[52:53]
	v_fmac_f64_e32 v[46:47], s[6:7], v[28:29]
	v_fmac_f64_e32 v[52:53], s[6:7], v[30:31]
	v_add_f64 v[28:29], v[102:103], v[96:97]
	v_add_f64 v[30:31], v[100:101], v[98:99]
	v_mul_f64 v[34:35], v[34:35], s[14:15]
	v_fmac_f64_e32 v[44:45], s[16:17], v[64:65]
	v_add_f64 v[28:29], v[60:61], v[28:29]
	v_add_f64 v[30:31], v[62:63], v[30:31]
	v_add_f64 v[54:55], v[84:85], -v[76:77]
	v_mul_f64 v[32:33], v[32:33], s[14:15]
	v_fma_f64 v[72:73], v[64:65], s[22:23], -v[34:35]
	v_add_f64 v[16:17], v[16:17], v[24:25]
	v_add_f64 v[24:25], v[46:47], v[24:25]
	v_fmac_f64_e32 v[44:45], s[12:13], v[40:41]
	s_waitcnt lgkmcnt(0)
	v_add_f64 v[20:21], v[20:21], v[28:29]
	v_add_f64 v[22:23], v[22:23], v[30:31]
	v_add_f64 v[50:51], v[50:51], -v[66:67]
	v_fma_f64 v[66:67], v[54:55], s[22:23], -v[32:33]
	v_add_f64 v[18:19], v[18:19], v[26:27]
	v_fmac_f64_e32 v[72:73], s[12:13], v[40:41]
	v_add_f64 v[26:27], v[52:53], v[26:27]
	v_add_f64 v[52:53], v[24:25], v[44:45]
	v_add_f64 v[24:25], v[24:25], -v[44:45]
	v_pk_mov_b32 v[44:45], v[20:21], v[20:21] op_sel:[0,1]
	v_pk_mov_b32 v[46:47], v[22:23], v[22:23] op_sel:[0,1]
	v_fmac_f64_e32 v[66:67], s[12:13], v[38:39]
	v_add_f64 v[32:33], v[16:17], v[72:73]
	v_add_f64 v[16:17], v[16:17], -v[72:73]
	v_fmac_f64_e32 v[42:43], s[16:17], v[54:55]
	v_fmac_f64_e32 v[44:45], s[24:25], v[28:29]
	;; [unrolled: 1-line block ×3, first 2 shown]
	v_add_f64 v[72:73], v[60:61], -v[102:103]
	v_add_f64 v[28:29], v[48:49], v[68:69]
	v_add_f64 v[30:31], v[48:49], -v[68:69]
	v_add_f64 v[64:65], v[68:69], -v[56:57]
	;; [unrolled: 1-line block ×4, first 2 shown]
	v_add_f64 v[18:19], v[66:67], v[18:19]
	v_fmac_f64_e32 v[42:43], s[12:13], v[38:39]
	v_add_f64 v[40:41], v[102:103], -v[96:97]
	v_add_f64 v[74:75], v[62:63], -v[100:101]
	v_add_f64 v[38:39], v[50:51], v[36:37]
	v_add_f64 v[66:67], v[50:51], -v[36:37]
	v_add_f64 v[76:77], v[28:29], v[56:57]
	v_mul_f64 v[80:81], v[30:31], s[28:29]
	v_mul_f64 v[28:29], v[72:73], s[6:7]
	v_add_f64 v[62:63], v[98:99], -v[62:63]
	v_add_f64 v[48:49], v[56:57], -v[48:49]
	v_mul_f64 v[56:57], v[60:61], s[18:19]
	v_mul_f64 v[60:61], v[64:65], s[14:15]
	v_add_f64 v[54:55], v[26:27], -v[42:43]
	v_add_f64 v[26:27], v[42:43], v[26:27]
	v_add_f64 v[42:43], v[100:101], -v[98:99]
	v_add_f64 v[68:69], v[36:37], -v[58:59]
	v_add_f64 v[78:79], v[38:39], v[58:59]
	v_mul_f64 v[82:83], v[66:67], s[28:29]
	v_fma_f64 v[28:29], v[40:41], s[26:27], -v[28:29]
	v_mul_f64 v[30:31], v[74:75], s[6:7]
	v_fma_f64 v[66:67], v[64:65], s[14:15], -v[80:81]
	v_add_f64 v[50:51], v[58:59], -v[50:51]
	v_mul_f64 v[58:59], v[62:63], s[18:19]
	v_fma_f64 v[40:41], v[40:41], s[20:21], -v[56:57]
	v_fma_f64 v[60:61], v[48:49], s[22:23], -v[60:61]
	v_fmac_f64_e32 v[56:57], s[6:7], v[72:73]
	v_fmac_f64_e32 v[80:81], s[16:17], v[48:49]
	v_add_f64 v[48:49], v[132:133], v[70:71]
	v_fma_f64 v[30:31], v[42:43], s[26:27], -v[30:31]
	v_add_f64 v[28:29], v[28:29], v[44:45]
	v_mul_f64 v[62:63], v[68:69], s[14:15]
	v_fma_f64 v[42:43], v[42:43], s[20:21], -v[58:59]
	v_add_f64 v[40:41], v[40:41], v[44:45]
	v_fmac_f64_e32 v[58:59], s[6:7], v[74:75]
	v_add_f64 v[44:45], v[56:57], v[44:45]
	v_add_f64 v[56:57], v[118:119], v[48:49]
	;; [unrolled: 1-line block ×4, first 2 shown]
	v_fma_f64 v[84:85], v[68:69], s[14:15], -v[82:83]
	v_fma_f64 v[62:63], v[50:51], s[22:23], -v[62:63]
	v_add_f64 v[42:43], v[42:43], v[46:47]
	v_fmac_f64_e32 v[82:83], s[16:17], v[50:51]
	v_add_f64 v[46:47], v[58:59], v[46:47]
	v_add_f64 v[58:59], v[120:121], v[48:49]
	ds_read_b128 v[48:51], v210 offset:544
	ds_read_b128 v[72:75], v210 offset:816
	v_fmac_f64_e32 v[66:67], s[12:13], v[76:77]
	v_fmac_f64_e32 v[84:85], s[12:13], v[78:79]
	;; [unrolled: 1-line block ×3, first 2 shown]
	s_waitcnt lgkmcnt(1)
	v_add_f64 v[48:49], v[48:49], v[56:57]
	v_add_f64 v[50:51], v[50:51], v[58:59]
	v_fmac_f64_e32 v[62:63], s[12:13], v[78:79]
	v_fmac_f64_e32 v[80:81], s[12:13], v[76:77]
	;; [unrolled: 1-line block ×3, first 2 shown]
	v_pk_mov_b32 v[76:77], v[48:49], v[48:49] op_sel:[0,1]
	v_pk_mov_b32 v[78:79], v[50:51], v[50:51] op_sel:[0,1]
	v_add_f64 v[64:65], v[40:41], v[62:63]
	v_add_f64 v[40:41], v[40:41], -v[62:63]
	v_add_f64 v[86:87], v[46:47], -v[80:81]
	v_add_f64 v[46:47], v[80:81], v[46:47]
	v_fmac_f64_e32 v[76:77], s[24:25], v[56:57]
	v_fmac_f64_e32 v[78:79], s[24:25], v[58:59]
	v_add_f64 v[80:81], v[118:119], -v[132:133]
	v_add_f64 v[92:93], v[120:121], -v[130:131]
	v_add_f64 v[56:57], v[122:123], v[128:129]
	v_add_f64 v[58:59], v[122:123], -v[128:129]
	v_add_f64 v[62:63], v[124:125], -v[126:127]
	;; [unrolled: 1-line block ×3, first 2 shown]
	v_add_f64 v[38:39], v[66:67], v[30:31]
	v_add_f64 v[28:29], v[28:29], v[84:85]
	v_add_f64 v[30:31], v[30:31], -v[66:67]
	v_add_f64 v[66:67], v[42:43], -v[60:61]
	v_add_f64 v[42:43], v[60:61], v[42:43]
	v_add_f64 v[84:85], v[44:45], v[82:83]
	v_add_f64 v[44:45], v[44:45], -v[82:83]
	v_add_f64 v[68:69], v[132:133], -v[70:71]
	;; [unrolled: 1-line block ×4, first 2 shown]
	v_add_f64 v[60:61], v[124:125], v[126:127]
	v_add_f64 v[90:91], v[126:127], -v[116:117]
	v_add_f64 v[94:95], v[56:57], v[114:115]
	v_mul_f64 v[98:99], v[58:59], s[28:29]
	v_mul_f64 v[126:127], v[62:63], s[28:29]
	;; [unrolled: 1-line block ×4, first 2 shown]
	v_add_f64 v[96:97], v[60:61], v[116:117]
	v_fma_f64 v[56:57], v[68:69], s[26:27], -v[56:57]
	v_fma_f64 v[58:59], v[82:83], s[26:27], -v[58:59]
	v_fma_f64 v[100:101], v[88:89], s[14:15], -v[98:99]
	v_fma_f64 v[102:103], v[90:91], s[14:15], -v[126:127]
	v_add_f64 v[56:57], v[56:57], v[76:77]
	v_add_f64 v[58:59], v[58:59], v[78:79]
	v_fmac_f64_e32 v[100:101], s[12:13], v[94:95]
	v_fmac_f64_e32 v[102:103], s[12:13], v[96:97]
	v_add_f64 v[70:71], v[70:71], -v[118:119]
	v_add_f64 v[60:61], v[56:57], -v[102:103]
	v_add_f64 v[62:63], v[100:101], v[58:59]
	v_add_f64 v[56:57], v[56:57], v[102:103]
	v_add_f64 v[58:59], v[58:59], -v[100:101]
	v_add_f64 v[100:101], v[112:113], -v[120:121]
	;; [unrolled: 1-line block ×4, first 2 shown]
	v_mul_f64 v[114:115], v[70:71], s[18:19]
	v_mul_f64 v[100:101], v[100:101], s[18:19]
	;; [unrolled: 1-line block ×3, first 2 shown]
	v_fma_f64 v[68:69], v[68:69], s[20:21], -v[114:115]
	v_fmac_f64_e32 v[114:115], s[6:7], v[80:81]
	v_fmac_f64_e32 v[126:127], s[16:17], v[112:113]
	v_fma_f64 v[82:83], v[82:83], s[20:21], -v[100:101]
	v_fma_f64 v[70:71], v[102:103], s[22:23], -v[70:71]
	v_add_f64 v[68:69], v[68:69], v[76:77]
	v_fmac_f64_e32 v[100:101], s[6:7], v[92:93]
	v_fmac_f64_e32 v[98:99], s[16:17], v[102:103]
	v_add_f64 v[76:77], v[114:115], v[76:77]
	v_fmac_f64_e32 v[126:127], s[12:13], v[96:97]
	v_mul_f64 v[88:89], v[90:91], s[14:15]
	v_add_f64 v[82:83], v[82:83], v[78:79]
	v_fmac_f64_e32 v[70:71], s[12:13], v[94:95]
	v_add_f64 v[78:79], v[100:101], v[78:79]
	v_fmac_f64_e32 v[98:99], s[12:13], v[94:95]
	v_add_f64 v[100:101], v[76:77], v[126:127]
	v_add_f64 v[80:81], v[76:77], -v[126:127]
	v_add_f64 v[76:77], v[164:165], v[104:105]
	v_fma_f64 v[116:117], v[112:113], s[22:23], -v[88:89]
	v_add_f64 v[90:91], v[82:83], -v[70:71]
	v_add_f64 v[70:71], v[70:71], v[82:83]
	v_add_f64 v[102:103], v[78:79], -v[98:99]
	v_add_f64 v[82:83], v[98:99], v[78:79]
	v_add_f64 v[76:77], v[150:151], v[76:77]
	;; [unrolled: 1-line block ×3, first 2 shown]
	v_fmac_f64_e32 v[116:117], s[12:13], v[96:97]
	v_add_f64 v[78:79], v[152:153], v[78:79]
	s_waitcnt lgkmcnt(0)
	v_add_f64 v[72:73], v[72:73], v[76:77]
	v_add_f64 v[88:89], v[68:69], v[116:117]
	v_add_f64 v[68:69], v[68:69], -v[116:117]
	v_add_f64 v[74:75], v[74:75], v[78:79]
	v_pk_mov_b32 v[116:117], v[72:73], v[72:73] op_sel:[0,1]
	v_add_f64 v[120:121], v[152:153], -v[162:163]
	v_add_f64 v[94:95], v[154:155], -v[160:161]
	v_fmac_f64_e32 v[116:117], s[24:25], v[76:77]
	v_pk_mov_b32 v[76:77], v[74:75], v[74:75] op_sel:[0,1]
	v_add_f64 v[112:113], v[162:163], -v[106:107]
	v_add_f64 v[92:93], v[154:155], v[160:161]
	v_add_f64 v[114:115], v[160:161], -v[108:109]
	v_mul_f64 v[128:129], v[94:95], s[28:29]
	v_mul_f64 v[94:95], v[120:121], s[6:7]
	v_fmac_f64_e32 v[76:77], s[24:25], v[78:79]
	v_add_f64 v[124:125], v[92:93], v[108:109]
	v_fma_f64 v[94:95], v[112:113], s[26:27], -v[94:95]
	v_fma_f64 v[132:133], v[114:115], s[14:15], -v[128:129]
	v_add_f64 v[78:79], v[164:165], -v[104:105]
	v_add_f64 v[118:119], v[150:151], -v[164:165]
	v_add_f64 v[96:97], v[156:157], v[158:159]
	v_add_f64 v[98:99], v[156:157], -v[158:159]
	v_add_f64 v[122:123], v[158:159], -v[110:111]
	v_add_f64 v[94:95], v[94:95], v[76:77]
	v_fmac_f64_e32 v[132:133], s[12:13], v[124:125]
	v_add_f64 v[104:105], v[104:105], -v[150:151]
	v_add_f64 v[106:107], v[106:107], -v[152:153]
	v_add_f64 v[126:127], v[96:97], v[110:111]
	v_mul_f64 v[130:131], v[98:99], s[28:29]
	v_mul_f64 v[92:93], v[118:119], s[6:7]
	v_add_f64 v[98:99], v[132:133], v[94:95]
	v_add_f64 v[94:95], v[94:95], -v[132:133]
	v_add_f64 v[108:109], v[108:109], -v[154:155]
	;; [unrolled: 1-line block ×3, first 2 shown]
	v_mul_f64 v[132:133], v[104:105], s[18:19]
	v_mul_f64 v[150:151], v[106:107], s[18:19]
	;; [unrolled: 1-line block ×4, first 2 shown]
	v_fma_f64 v[92:93], v[78:79], s[26:27], -v[92:93]
	v_fma_f64 v[158:159], v[122:123], s[14:15], -v[130:131]
	;; [unrolled: 1-line block ×6, first 2 shown]
	v_fmac_f64_e32 v[150:151], s[6:7], v[120:121]
	v_fmac_f64_e32 v[128:129], s[16:17], v[108:109]
	v_add_f64 v[78:79], v[78:79], v[116:117]
	v_add_f64 v[106:107], v[112:113], v[76:77]
	v_fmac_f64_e32 v[104:105], s[12:13], v[126:127]
	v_fmac_f64_e32 v[132:133], s[6:7], v[118:119]
	;; [unrolled: 1-line block ×3, first 2 shown]
	v_add_f64 v[76:77], v[150:151], v[76:77]
	v_fmac_f64_e32 v[128:129], s[12:13], v[124:125]
	v_add_f64 v[112:113], v[78:79], v[104:105]
	v_add_f64 v[104:105], v[78:79], -v[104:105]
	v_add_f64 v[78:79], v[132:133], v[116:117]
	v_fmac_f64_e32 v[130:131], s[12:13], v[126:127]
	v_add_f64 v[118:119], v[76:77], -v[128:129]
	v_add_f64 v[110:111], v[128:129], v[76:77]
	v_add_f64 v[76:77], v[172:173], v[134:135]
	;; [unrolled: 1-line block ×4, first 2 shown]
	v_add_f64 v[108:109], v[78:79], -v[130:131]
	v_add_f64 v[76:77], v[142:143], v[76:77]
	v_add_f64 v[78:79], v[170:171], v[136:137]
	;; [unrolled: 1-line block ×5, first 2 shown]
	v_pk_mov_b32 v[150:151], v[0:1], v[0:1] op_sel:[0,1]
	v_fmac_f64_e32 v[158:159], s[12:13], v[126:127]
	v_fmac_f64_e32 v[150:151], s[24:25], v[76:77]
	v_pk_mov_b32 v[76:77], v[2:3], v[2:3] op_sel:[0,1]
	v_add_f64 v[126:127], v[148:149], -v[166:167]
	v_fmac_f64_e32 v[122:123], s[12:13], v[124:125]
	v_fmac_f64_e32 v[76:77], s[24:25], v[78:79]
	v_add_f64 v[78:79], v[172:173], -v[134:135]
	v_add_f64 v[152:153], v[142:143], -v[172:173]
	v_add_f64 v[120:121], v[146:147], v[168:169]
	v_add_f64 v[124:125], v[148:149], v[166:167]
	v_add_f64 v[132:133], v[166:167], -v[140:141]
	v_mul_f64 v[162:163], v[126:127], s[28:29]
	v_add_f64 v[134:135], v[134:135], -v[142:143]
	v_add_f64 v[96:97], v[92:93], -v[158:159]
	v_add_f64 v[92:93], v[92:93], v[158:159]
	v_add_f64 v[114:115], v[106:107], -v[122:123]
	v_add_f64 v[106:107], v[122:123], v[106:107]
	v_add_f64 v[128:129], v[170:171], -v[136:137]
	v_add_f64 v[154:155], v[144:145], -v[170:171]
	;; [unrolled: 1-line block ×3, first 2 shown]
	v_add_f64 v[156:157], v[120:121], v[138:139]
	v_add_f64 v[158:159], v[124:125], v[140:141]
	v_mul_f64 v[120:121], v[152:153], s[6:7]
	v_fma_f64 v[166:167], v[132:133], s[14:15], -v[162:163]
	v_add_f64 v[136:137], v[136:137], -v[144:145]
	v_add_f64 v[140:141], v[140:141], -v[148:149]
	v_mul_f64 v[142:143], v[134:135], s[18:19]
	v_mul_f64 v[132:133], v[132:133], s[14:15]
	;; [unrolled: 1-line block ×3, first 2 shown]
	v_fma_f64 v[120:121], v[78:79], s[26:27], -v[120:121]
	v_mul_f64 v[122:123], v[154:155], s[6:7]
	v_mul_f64 v[136:137], v[136:137], s[18:19]
	v_fma_f64 v[78:79], v[78:79], s[20:21], -v[142:143]
	v_fma_f64 v[132:133], v[140:141], s[22:23], -v[132:133]
	v_add_f64 v[130:131], v[168:169], -v[138:139]
	v_fma_f64 v[122:123], v[128:129], s[26:27], -v[122:123]
	v_add_f64 v[138:139], v[138:139], -v[146:147]
	v_fma_f64 v[128:129], v[128:129], s[20:21], -v[136:137]
	v_add_f64 v[78:79], v[78:79], v[150:151]
	v_fmac_f64_e32 v[132:133], s[12:13], v[158:159]
	v_add_f64 v[144:145], v[128:129], v[76:77]
	v_add_f64 v[128:129], v[78:79], v[132:133]
	v_add_f64 v[132:133], v[78:79], -v[132:133]
	v_fma_f64 v[78:79], s[6:7], v[152:153], v[142:143]
	v_fmac_f64_e32 v[136:137], s[6:7], v[154:155]
	v_fma_f64 v[142:143], s[16:17], v[138:139], v[160:161]
	v_fmac_f64_e32 v[162:163], s[16:17], v[140:141]
	v_fma_f64 v[164:165], v[130:131], s[14:15], -v[160:161]
	v_mul_f64 v[130:131], v[130:131], s[14:15]
	v_add_f64 v[78:79], v[78:79], v[150:151]
	v_add_f64 v[140:141], v[136:137], v[76:77]
	v_fmac_f64_e32 v[142:143], s[12:13], v[156:157]
	v_fmac_f64_e32 v[162:163], s[12:13], v[158:159]
	v_add_f64 v[126:127], v[122:123], v[76:77]
	v_fma_f64 v[134:135], v[138:139], s[22:23], -v[130:131]
	v_add_f64 v[136:137], v[78:79], v[162:163]
	v_add_f64 v[138:139], v[140:141], -v[142:143]
	v_add_f64 v[76:77], v[78:79], -v[162:163]
	v_add_f64 v[78:79], v[142:143], v[140:141]
	v_mul_lo_u16_e32 v140, 7, v208
	v_lshl_add_u32 v140, v140, 4, v211
	s_waitcnt lgkmcnt(0)
	; wave barrier
	ds_write_b128 v140, v[4:7]
	ds_write_b128 v140, v[52:55] offset:16
	ds_write_b128 v140, v[32:35] offset:32
	;; [unrolled: 1-line block ×5, first 2 shown]
	v_mul_u32_u24_e32 v4, 7, v228
	v_lshl_add_u32 v4, v4, 4, v211
	v_add_co_u32_e32 v7, vcc, 34, v208
	buffer_store_dword v140, off, s[60:63], 0 offset:568 ; 4-byte Folded Spill
	ds_write_b128 v140, v[24:27] offset:96
	ds_write_b128 v4, v[20:23]
	ds_write_b128 v4, v[84:87] offset:16
	ds_write_b128 v4, v[64:67] offset:32
	;; [unrolled: 1-line block ×5, first 2 shown]
	v_accvgpr_write_b32 a254, v4
	ds_write_b128 v4, v[44:47] offset:96
	v_mul_u32_u24_e32 v4, 7, v7
	v_add_co_u32_e32 v6, vcc, 51, v208
	v_lshl_add_u32 v4, v4, 4, v211
	s_movk_i32 s6, 0x44
	ds_write_b128 v4, v[48:51]
	ds_write_b128 v4, v[100:103] offset:16
	ds_write_b128 v4, v[88:91] offset:32
	;; [unrolled: 1-line block ×5, first 2 shown]
	v_accvgpr_write_b32 a255, v4
	ds_write_b128 v4, v[80:83] offset:96
	v_mul_u32_u24_e32 v4, 7, v6
	v_add_co_u32_e32 v5, vcc, s6, v208
	v_lshl_add_u32 v4, v4, 4, v211
	v_add_f64 v[124:125], v[120:121], v[150:151]
	v_fmac_f64_e32 v[164:165], s[12:13], v[156:157]
	v_fmac_f64_e32 v[166:167], s[12:13], v[158:159]
	;; [unrolled: 1-line block ×3, first 2 shown]
	ds_write_b128 v4, v[72:75]
	ds_write_b128 v4, v[116:119] offset:16
	ds_write_b128 v4, v[112:115] offset:32
	;; [unrolled: 1-line block ×5, first 2 shown]
	v_accvgpr_write_b32 a21, v4
	ds_write_b128 v4, v[108:111] offset:96
	v_mul_u32_u24_e32 v4, 7, v5
	v_add_f64 v[120:121], v[124:125], -v[166:167]
	v_add_f64 v[122:123], v[164:165], v[126:127]
	v_add_f64 v[124:125], v[124:125], v[166:167]
	v_add_f64 v[126:127], v[126:127], -v[164:165]
	v_add_f64 v[130:131], v[144:145], -v[134:135]
	v_add_f64 v[134:135], v[134:135], v[144:145]
	v_lshl_add_u32 v4, v4, 4, v211
	ds_write_b128 v4, v[0:3]
	ds_write_b128 v4, v[136:139] offset:16
	ds_write_b128 v4, v[128:131] offset:32
	ds_write_b128 v4, v[120:123] offset:48
	ds_write_b128 v4, v[124:127] offset:64
	ds_write_b128 v4, v[132:135] offset:80
	ds_write_b128 v4, v[76:79] offset:96
	s_waitcnt lgkmcnt(0)
	; wave barrier
	s_waitcnt lgkmcnt(0)
	ds_read_b128 v[0:3], v210
	ds_read_b128 v[80:83], v210 offset:272
	ds_read_b128 v[200:203], v210 offset:560
	;; [unrolled: 1-line block ×33, first 2 shown]
	v_accvgpr_write_b32 a140, v7
	v_accvgpr_write_b32 a160, v6
	;; [unrolled: 1-line block ×4, first 2 shown]
	v_cmp_eq_u16_e32 vcc, 0, v208
                                        ; implicit-def: $vgpr48_vgpr49
                                        ; implicit-def: $vgpr56_vgpr57
                                        ; implicit-def: $vgpr60_vgpr61
                                        ; implicit-def: $vgpr64_vgpr65
                                        ; implicit-def: $vgpr32_vgpr33
                                        ; implicit-def: $vgpr40_vgpr41
                                        ; implicit-def: $vgpr44_vgpr45
                                        ; implicit-def: $vgpr52_vgpr53
                                        ; implicit-def: $vgpr16_vgpr17
                                        ; implicit-def: $vgpr24_vgpr25
                                        ; implicit-def: $vgpr28_vgpr29
                                        ; implicit-def: $vgpr36_vgpr37
                                        ; implicit-def: $vgpr4_vgpr5
                                        ; implicit-def: $vgpr8_vgpr9
                                        ; implicit-def: $vgpr12_vgpr13
                                        ; implicit-def: $vgpr20_vgpr21
	s_and_saveexec_b64 s[6:7], vcc
	s_cbranch_execz .LBB0_3
; %bb.2:
	ds_read_b128 v[76:79], v211 offset:544
	ds_read_b128 v[48:51], v211 offset:1104
	;; [unrolled: 1-line block ×17, first 2 shown]
.LBB0_3:
	s_or_b64 exec, exec, s[6:7]
	v_mov_b32_e32 v205, 37
	v_mul_lo_u16_sdwa v204, v208, v205 dst_sel:DWORD dst_unused:UNUSED_PAD src0_sel:BYTE_0 src1_sel:DWORD
	v_sub_u16_sdwa v206, v208, v204 dst_sel:DWORD dst_unused:UNUSED_PAD src0_sel:DWORD src1_sel:BYTE_1
	v_lshrrev_b16_e32 v206, 1, v206
	v_and_b32_e32 v206, 0x7f, v206
	v_add_u16_sdwa v204, v206, v204 dst_sel:DWORD dst_unused:UNUSED_PAD src0_sel:DWORD src1_sel:BYTE_1
	v_lshrrev_b16_e32 v206, 2, v204
	v_mul_lo_u16_e32 v204, 7, v206
	v_accvgpr_write_b32 a12, v206
	v_sub_u16_e32 v206, v208, v204
	v_mov_b32_e32 v204, 8
	v_accvgpr_write_b32 a20, v208
	v_lshlrev_b32_sdwa v208, v204, v206 dst_sel:DWORD dst_unused:UNUSED_PAD src0_sel:DWORD src1_sel:BYTE_0
	global_load_dwordx4 v[212:215], v208, s[2:3] offset:48
	global_load_dwordx4 v[216:219], v208, s[2:3] offset:32
	;; [unrolled: 1-line block ×3, first 2 shown]
	global_load_dwordx4 v[224:227], v208, s[2:3]
	v_accvgpr_write_b32 a13, v206
	v_accvgpr_write_b32 a116, v228
	s_mov_b32 s50, 0x7c9e640b
	s_mov_b32 s51, 0xbfeca52d
	;; [unrolled: 1-line block ×48, first 2 shown]
	s_waitcnt vmcnt(3) lgkmcnt(14)
	v_mul_f64 v[238:239], v[188:189], v[214:215]
	s_waitcnt vmcnt(2)
	v_mul_f64 v[242:243], v[192:193], v[218:219]
	s_waitcnt vmcnt(1)
	;; [unrolled: 2-line block ×3, first 2 shown]
	v_mul_f64 v[206:207], v[202:203], v[226:227]
	v_fma_f64 v[252:253], v[200:201], v[224:225], -v[206:207]
	v_mul_f64 v[250:251], v[200:201], v[226:227]
	v_mul_f64 v[200:201], v[198:199], v[222:223]
	v_fma_f64 v[248:249], v[196:197], v[220:221], -v[200:201]
	v_mul_f64 v[196:197], v[194:195], v[218:219]
	v_fma_f64 v[244:245], v[192:193], v[216:217], -v[196:197]
	v_mul_f64 v[192:193], v[190:191], v[214:215]
	buffer_store_dword v224, off, s[60:63], 0 offset:620 ; 4-byte Folded Spill
	s_nop 0
	buffer_store_dword v225, off, s[60:63], 0 offset:624 ; 4-byte Folded Spill
	buffer_store_dword v226, off, s[60:63], 0 offset:628 ; 4-byte Folded Spill
	buffer_store_dword v227, off, s[60:63], 0 offset:632 ; 4-byte Folded Spill
	buffer_store_dword v220, off, s[60:63], 0 offset:604 ; 4-byte Folded Spill
	s_nop 0
	buffer_store_dword v221, off, s[60:63], 0 offset:608 ; 4-byte Folded Spill
	buffer_store_dword v222, off, s[60:63], 0 offset:612 ; 4-byte Folded Spill
	buffer_store_dword v223, off, s[60:63], 0 offset:616 ; 4-byte Folded Spill
	;; [unrolled: 5-line block ×3, first 2 shown]
	v_fma_f64 v[240:241], v[188:189], v[212:213], -v[192:193]
	buffer_store_dword v212, off, s[60:63], 0 offset:572 ; 4-byte Folded Spill
	s_nop 0
	buffer_store_dword v213, off, s[60:63], 0 offset:576 ; 4-byte Folded Spill
	buffer_store_dword v214, off, s[60:63], 0 offset:580 ; 4-byte Folded Spill
	buffer_store_dword v215, off, s[60:63], 0 offset:584 ; 4-byte Folded Spill
	v_fmac_f64_e32 v[250:251], v[202:203], v[224:225]
	v_fmac_f64_e32 v[246:247], v[198:199], v[220:221]
	;; [unrolled: 1-line block ×4, first 2 shown]
	global_load_dwordx4 v[196:199], v208, s[2:3] offset:112
	global_load_dwordx4 v[200:203], v208, s[2:3] offset:96
	;; [unrolled: 1-line block ×4, first 2 shown]
	s_waitcnt vmcnt(3)
	v_accvgpr_write_b32 a225, v199
	s_waitcnt vmcnt(2)
	v_accvgpr_write_b32 a233, v203
	s_waitcnt vmcnt(1)
	v_mul_f64 v[194:195], v[180:181], v[214:215]
	s_waitcnt vmcnt(0)
	v_mul_f64 v[188:189], v[186:187], v[192:193]
	v_fma_f64 v[234:235], v[184:185], v[190:191], -v[188:189]
	v_mul_f64 v[236:237], v[184:185], v[192:193]
	v_accvgpr_write_b32 a245, v193
	v_mul_f64 v[184:185], v[182:183], v[214:215]
	v_accvgpr_write_b32 a244, v192
	v_accvgpr_write_b32 a243, v191
	v_accvgpr_write_b32 a242, v190
	v_fma_f64 v[192:193], v[180:181], v[212:213], -v[184:185]
	v_mul_f64 v[180:181], v[178:179], v[202:203]
	v_fmac_f64_e32 v[194:195], v[182:183], v[212:213]
	v_fma_f64 v[182:183], v[176:177], v[200:201], -v[180:181]
	v_mul_f64 v[180:181], v[176:177], v[202:203]
	v_mul_f64 v[176:177], v[174:175], v[198:199]
	v_fma_f64 v[176:177], v[172:173], v[196:197], -v[176:177]
	v_mul_f64 v[172:173], v[172:173], v[198:199]
	v_fmac_f64_e32 v[236:237], v[186:187], v[190:191]
	v_accvgpr_write_b32 a232, v202
	v_accvgpr_write_b32 a231, v201
	v_accvgpr_write_b32 a230, v200
	v_fmac_f64_e32 v[180:181], v[178:179], v[200:201]
	v_accvgpr_write_b32 a224, v198
	v_accvgpr_write_b32 a223, v197
	v_accvgpr_write_b32 a222, v196
	v_fmac_f64_e32 v[172:173], v[174:175], v[196:197]
	global_load_dwordx4 v[188:191], v208, s[2:3] offset:176
	global_load_dwordx4 v[196:199], v208, s[2:3] offset:160
	;; [unrolled: 1-line block ×4, first 2 shown]
	v_accvgpr_write_b32 a237, v215
	v_accvgpr_write_b32 a236, v214
	;; [unrolled: 1-line block ×4, first 2 shown]
	s_waitcnt vmcnt(3)
	v_accvgpr_write_b32 a249, v191
	s_waitcnt vmcnt(2)
	v_accvgpr_write_b32 a253, v199
	;; [unrolled: 2-line block ×3, first 2 shown]
	s_waitcnt vmcnt(0)
	v_mul_f64 v[174:175], v[166:167], v[186:187]
	v_fma_f64 v[178:179], v[164:165], v[184:185], -v[174:175]
	v_mul_f64 v[174:175], v[164:165], v[186:187]
	v_accvgpr_write_b32 a96, v184
	s_waitcnt lgkmcnt(13)
	v_mul_f64 v[164:165], v[158:159], v[202:203]
	v_accvgpr_write_b32 a97, v185
	v_accvgpr_write_b32 a98, v186
	;; [unrolled: 1-line block ×3, first 2 shown]
	v_fmac_f64_e32 v[174:175], v[166:167], v[184:185]
	v_fma_f64 v[186:187], v[156:157], v[200:201], -v[164:165]
	v_mul_f64 v[184:185], v[156:157], v[202:203]
	s_waitcnt lgkmcnt(11)
	v_mul_f64 v[156:157], v[170:171], v[198:199]
	v_fma_f64 v[232:233], v[168:169], v[196:197], -v[156:157]
	v_mul_f64 v[168:169], v[168:169], v[198:199]
	s_waitcnt lgkmcnt(9)
	v_mul_f64 v[156:157], v[162:163], v[190:191]
	v_fmac_f64_e32 v[168:169], v[170:171], v[196:197]
	v_fma_f64 v[170:171], v[160:161], v[188:189], -v[156:157]
	v_mul_f64 v[160:161], v[160:161], v[190:191]
	v_accvgpr_write_b32 a210, v202
	v_accvgpr_write_b32 a209, v201
	;; [unrolled: 1-line block ×3, first 2 shown]
	v_fmac_f64_e32 v[184:185], v[158:159], v[200:201]
	v_accvgpr_write_b32 a252, v198
	v_accvgpr_write_b32 a251, v197
	;; [unrolled: 1-line block ×6, first 2 shown]
	v_fmac_f64_e32 v[160:161], v[162:163], v[188:189]
	global_load_dwordx4 v[164:167], v208, s[2:3] offset:240
	global_load_dwordx4 v[188:191], v208, s[2:3] offset:224
	;; [unrolled: 1-line block ×4, first 2 shown]
	s_waitcnt vmcnt(3)
	v_accvgpr_write_b32 a0, v164
	s_waitcnt vmcnt(2)
	v_accvgpr_write_b32 a40, v188
	;; [unrolled: 2-line block ×3, first 2 shown]
	s_waitcnt vmcnt(0) lgkmcnt(7)
	v_mul_f64 v[156:157], v[154:155], v[202:203]
	v_fma_f64 v[162:163], v[152:153], v[200:201], -v[156:157]
	v_mul_f64 v[152:153], v[152:153], v[202:203]
	v_fmac_f64_e32 v[152:153], v[154:155], v[200:201]
	s_waitcnt lgkmcnt(5)
	v_mul_f64 v[154:155], v[150:151], v[198:199]
	v_fma_f64 v[154:155], v[148:149], v[196:197], -v[154:155]
	v_mul_f64 v[148:149], v[148:149], v[198:199]
	v_fmac_f64_e32 v[148:149], v[150:151], v[196:197]
	s_waitcnt lgkmcnt(3)
	;; [unrolled: 5-line block ×3, first 2 shown]
	v_mul_f64 v[146:147], v[142:143], v[166:167]
	v_fma_f64 v[146:147], v[140:141], v[164:165], -v[146:147]
	v_mul_f64 v[140:141], v[140:141], v[166:167]
	v_fmac_f64_e32 v[140:141], v[142:143], v[164:165]
	v_mul_lo_u16_sdwa v142, v228, v205 dst_sel:DWORD dst_unused:UNUSED_PAD src0_sel:BYTE_0 src1_sel:DWORD
	v_sub_u16_sdwa v143, v228, v142 dst_sel:DWORD dst_unused:UNUSED_PAD src0_sel:DWORD src1_sel:BYTE_1
	v_lshrrev_b16_e32 v143, 1, v143
	v_and_b32_e32 v143, 0x7f, v143
	v_add_u16_sdwa v142, v143, v142 dst_sel:DWORD dst_unused:UNUSED_PAD src0_sel:DWORD src1_sel:BYTE_1
	v_lshrrev_b16_e32 v143, 2, v142
	v_mul_lo_u16_e32 v142, 7, v143
	v_accvgpr_write_b32 a44, v200
	v_sub_u16_e32 v142, v228, v142
	v_accvgpr_write_b32 a45, v201
	v_accvgpr_write_b32 a46, v202
	v_accvgpr_write_b32 a47, v203
	v_lshlrev_b32_sdwa v202, v204, v142 dst_sel:DWORD dst_unused:UNUSED_PAD src0_sel:DWORD src1_sel:BYTE_0
	v_accvgpr_write_b32 a93, v197
	v_accvgpr_write_b32 a94, v198
	;; [unrolled: 1-line block ×9, first 2 shown]
	global_load_dwordx4 v[156:159], v202, s[2:3] offset:48
	global_load_dwordx4 v[164:167], v202, s[2:3] offset:32
	;; [unrolled: 1-line block ×3, first 2 shown]
	global_load_dwordx4 v[196:199], v202, s[2:3]
	v_accvgpr_write_b32 a14, v143
	v_accvgpr_write_b32 a15, v142
	v_add_f64 v[214:215], v[248:249], v[150:151]
	s_waitcnt vmcnt(3)
	v_accvgpr_write_b32 a48, v156
	s_waitcnt vmcnt(2)
	v_mul_f64 v[208:209], v[128:129], v[166:167]
	s_waitcnt vmcnt(1)
	v_mul_f64 v[216:217], v[132:133], v[190:191]
	;; [unrolled: 2-line block ×3, first 2 shown]
	v_fma_f64 v[226:227], v[136:137], v[196:197], -v[142:143]
	v_mul_f64 v[224:225], v[136:137], v[198:199]
	v_mul_f64 v[136:137], v[134:135], v[190:191]
	v_accvgpr_write_b32 a60, v196
	v_fma_f64 v[218:219], v[132:133], v[188:189], -v[136:137]
	v_mul_f64 v[132:133], v[130:131], v[166:167]
	v_accvgpr_write_b32 a61, v197
	v_accvgpr_write_b32 a62, v198
	;; [unrolled: 1-line block ×3, first 2 shown]
	v_fma_f64 v[254:255], v[128:129], v[164:165], -v[132:133]
	v_mul_f64 v[128:129], v[126:127], v[158:159]
	v_mul_f64 v[198:199], v[124:125], v[158:159]
	v_fmac_f64_e32 v[216:217], v[134:135], v[188:189]
	v_fmac_f64_e32 v[208:209], v[130:131], v[164:165]
	v_fma_f64 v[200:201], v[124:125], v[156:157], -v[128:129]
	v_accvgpr_write_b32 a49, v157
	v_accvgpr_write_b32 a50, v158
	;; [unrolled: 1-line block ×3, first 2 shown]
	v_fmac_f64_e32 v[198:199], v[126:127], v[156:157]
	global_load_dwordx4 v[126:129], v202, s[2:3] offset:112
	global_load_dwordx4 v[130:133], v202, s[2:3] offset:96
	;; [unrolled: 1-line block ×4, first 2 shown]
	v_accvgpr_write_b32 a30, v188
	v_accvgpr_write_b32 a31, v189
	;; [unrolled: 1-line block ×8, first 2 shown]
	v_fmac_f64_e32 v[224:225], v[138:139], v[196:197]
	s_waitcnt vmcnt(3)
	v_accvgpr_write_b32 a88, v126
	s_waitcnt vmcnt(2)
	v_accvgpr_write_b32 a68, v130
	;; [unrolled: 2-line block ×3, first 2 shown]
	s_waitcnt vmcnt(0)
	v_mul_f64 v[124:125], v[122:123], v[158:159]
	v_fma_f64 v[190:191], v[120:121], v[156:157], -v[124:125]
	v_mul_f64 v[188:189], v[120:121], v[158:159]
	v_accvgpr_write_b32 a72, v156
	v_mul_f64 v[120:121], v[118:119], v[136:137]
	v_accvgpr_write_b32 a73, v157
	v_accvgpr_write_b32 a74, v158
	;; [unrolled: 1-line block ×3, first 2 shown]
	v_fmac_f64_e32 v[188:189], v[122:123], v[156:157]
	v_fma_f64 v[158:159], v[116:117], v[134:135], -v[120:121]
	v_mul_f64 v[156:157], v[116:117], v[136:137]
	v_mul_f64 v[116:117], v[114:115], v[132:133]
	v_fmac_f64_e32 v[156:157], v[118:119], v[134:135]
	v_fma_f64 v[118:119], v[112:113], v[130:131], -v[116:117]
	v_mul_f64 v[116:117], v[112:113], v[132:133]
	v_mul_f64 v[112:113], v[110:111], v[128:129]
	v_fma_f64 v[112:113], v[108:109], v[126:127], -v[112:113]
	v_mul_f64 v[108:109], v[108:109], v[128:129]
	v_accvgpr_write_b32 a27, v135
	v_accvgpr_write_b32 a28, v136
	;; [unrolled: 1-line block ×6, first 2 shown]
	v_fmac_f64_e32 v[116:117], v[114:115], v[130:131]
	v_accvgpr_write_b32 a89, v127
	v_accvgpr_write_b32 a90, v128
	;; [unrolled: 1-line block ×3, first 2 shown]
	v_fmac_f64_e32 v[108:109], v[110:111], v[126:127]
	global_load_dwordx4 v[120:123], v202, s[2:3] offset:176
	global_load_dwordx4 v[128:131], v202, s[2:3] offset:160
	;; [unrolled: 1-line block ×4, first 2 shown]
	s_waitcnt vmcnt(3)
	v_accvgpr_write_b32 a100, v120
	s_waitcnt vmcnt(2)
	v_mul_f64 v[164:165], v[104:105], v[130:131]
	v_fmac_f64_e32 v[164:165], v[106:107], v[128:129]
	s_waitcnt vmcnt(0)
	v_mul_f64 v[110:111], v[102:103], v[126:127]
	v_fma_f64 v[114:115], v[100:101], v[124:125], -v[110:111]
	v_mul_f64 v[110:111], v[100:101], v[126:127]
	v_accvgpr_write_b32 a104, v124
	v_mul_f64 v[100:101], v[94:95], v[134:135]
	v_accvgpr_write_b32 a105, v125
	v_accvgpr_write_b32 a106, v126
	;; [unrolled: 1-line block ×3, first 2 shown]
	v_fmac_f64_e32 v[110:111], v[102:103], v[124:125]
	v_fma_f64 v[126:127], v[92:93], v[132:133], -v[100:101]
	v_mul_f64 v[124:125], v[92:93], v[134:135]
	v_mul_f64 v[92:93], v[106:107], v[130:131]
	v_fma_f64 v[166:167], v[104:105], v[128:129], -v[92:93]
	v_mul_f64 v[92:93], v[98:99], v[122:123]
	v_mul_f64 v[106:107], v[96:97], v[122:123]
	v_fmac_f64_e32 v[124:125], v[94:95], v[132:133]
	v_fma_f64 v[196:197], v[96:97], v[120:121], -v[92:93]
	v_accvgpr_write_b32 a101, v121
	v_accvgpr_write_b32 a102, v122
	;; [unrolled: 1-line block ×3, first 2 shown]
	v_fmac_f64_e32 v[106:107], v[98:99], v[120:121]
	global_load_dwordx4 v[94:97], v202, s[2:3] offset:240
	global_load_dwordx4 v[98:101], v202, s[2:3] offset:224
	global_load_dwordx4 v[102:105], v202, s[2:3] offset:208
	global_load_dwordx4 v[120:123], v202, s[2:3] offset:192
	v_accvgpr_write_b32 a16, v128
	v_accvgpr_write_b32 a17, v129
	;; [unrolled: 1-line block ×8, first 2 shown]
	s_waitcnt vmcnt(3) lgkmcnt(0)
	v_mul_f64 v[228:229], v[68:69], v[96:97]
	s_waitcnt vmcnt(2)
	v_mul_f64 v[220:221], v[72:73], v[100:101]
	s_waitcnt vmcnt(1)
	;; [unrolled: 2-line block ×3, first 2 shown]
	v_mul_f64 v[92:93], v[90:91], v[122:123]
	v_fma_f64 v[206:207], v[88:89], v[120:121], -v[92:93]
	v_mul_f64 v[202:203], v[88:89], v[122:123]
	v_mul_f64 v[88:89], v[86:87], v[104:105]
	v_fma_f64 v[88:89], v[84:85], v[102:103], -v[88:89]
	v_mul_f64 v[84:85], v[74:75], v[100:101]
	v_fma_f64 v[222:223], v[72:73], v[98:99], -v[84:85]
	v_mul_f64 v[72:73], v[70:71], v[96:97]
	v_fmac_f64_e32 v[228:229], v[70:71], v[94:95]
	v_accvgpr_read_b32 v70, a140
	v_fma_f64 v[230:231], v[68:69], v[94:95], -v[72:73]
	v_mul_lo_u16_sdwa v68, v70, v205 dst_sel:DWORD dst_unused:UNUSED_PAD src0_sel:BYTE_0 src1_sel:DWORD
	v_sub_u16_sdwa v69, v70, v68 dst_sel:DWORD dst_unused:UNUSED_PAD src0_sel:DWORD src1_sel:BYTE_1
	v_lshrrev_b16_e32 v69, 1, v69
	v_and_b32_e32 v69, 0x7f, v69
	v_add_u16_sdwa v68, v69, v68 dst_sel:DWORD dst_unused:UNUSED_PAD src0_sel:DWORD src1_sel:BYTE_1
	v_lshrrev_b16_e32 v68, 2, v68
	v_mul_lo_u16_e32 v68, 7, v68
	v_sub_u16_e32 v68, v70, v68
	buffer_store_dword v68, off, s[60:63], 0 offset:340 ; 4-byte Folded Spill
	v_lshlrev_b16_e32 v68, 4, v68
	v_and_b32_e32 v68, 0xf0, v68
	v_accvgpr_write_b32 a111, v101
	v_accvgpr_write_b32 a80, v94
	v_lshlrev_b32_e32 v70, 4, v68
	v_fmac_f64_e32 v[202:203], v[90:91], v[120:121]
	v_accvgpr_write_b32 a110, v100
	v_accvgpr_write_b32 a109, v99
	;; [unrolled: 1-line block ×3, first 2 shown]
	v_fmac_f64_e32 v[220:221], v[74:75], v[98:99]
	v_accvgpr_write_b32 a81, v95
	v_accvgpr_write_b32 a82, v96
	;; [unrolled: 1-line block ×3, first 2 shown]
	global_load_dwordx4 v[98:101], v70, s[2:3] offset:48
	global_load_dwordx4 v[94:97], v70, s[2:3] offset:32
	global_load_dwordx4 v[90:93], v70, s[2:3] offset:16
	global_load_dwordx4 v[72:75], v70, s[2:3]
	v_fmac_f64_e32 v[212:213], v[86:87], v[102:103]
	v_accvgpr_write_b32 a36, v102
	v_accvgpr_write_b32 a37, v103
	v_accvgpr_write_b32 a38, v104
	v_accvgpr_write_b32 a39, v105
	v_accvgpr_write_b32 a4, v120
	v_accvgpr_write_b32 a5, v121
	v_accvgpr_write_b32 a6, v122
	v_accvgpr_write_b32 a7, v123
	v_add_f64 v[122:123], v[250:251], -v[140:141]
	v_add_f64 v[204:205], v[246:247], v[144:145]
	s_waitcnt vmcnt(0)
	v_mul_f64 v[68:69], v[50:51], v[74:75]
	v_fma_f64 v[86:87], v[48:49], v[72:73], -v[68:69]
	v_mul_f64 v[84:85], v[48:49], v[74:75]
	buffer_store_dword v72, off, s[60:63], 0 offset:636 ; 4-byte Folded Spill
	s_nop 0
	buffer_store_dword v73, off, s[60:63], 0 offset:640 ; 4-byte Folded Spill
	buffer_store_dword v74, off, s[60:63], 0 offset:644 ; 4-byte Folded Spill
	;; [unrolled: 1-line block ×3, first 2 shown]
	v_mul_f64 v[48:49], v[58:59], v[92:93]
	v_fma_f64 v[48:49], v[56:57], v[90:91], -v[48:49]
	v_accvgpr_write_b32 a121, v49
	v_accvgpr_write_b32 a120, v48
	v_mul_f64 v[48:49], v[62:63], v[96:97]
	v_fma_f64 v[48:49], v[60:61], v[94:95], -v[48:49]
	v_accvgpr_write_b32 a113, v49
	v_accvgpr_write_b32 a112, v48
	;; [unrolled: 4-line block ×3, first 2 shown]
	v_accvgpr_write_b32 a119, v87
	v_accvgpr_write_b32 a118, v86
	v_accvgpr_mov_b32 a129, a85
	v_accvgpr_mov_b32 a128, a84
	v_fmac_f64_e32 v[84:85], v[50:51], v[72:73]
	v_mul_f64 v[72:73], v[56:57], v[92:93]
	buffer_store_dword v90, off, s[60:63], 0 offset:652 ; 4-byte Folded Spill
	s_nop 0
	buffer_store_dword v91, off, s[60:63], 0 offset:656 ; 4-byte Folded Spill
	buffer_store_dword v92, off, s[60:63], 0 offset:660 ; 4-byte Folded Spill
	;; [unrolled: 1-line block ×3, first 2 shown]
	v_fmac_f64_e32 v[72:73], v[58:59], v[90:91]
	v_mul_f64 v[58:59], v[60:61], v[96:97]
	buffer_store_dword v94, off, s[60:63], 0 offset:668 ; 4-byte Folded Spill
	s_nop 0
	buffer_store_dword v95, off, s[60:63], 0 offset:672 ; 4-byte Folded Spill
	buffer_store_dword v96, off, s[60:63], 0 offset:676 ; 4-byte Folded Spill
	;; [unrolled: 1-line block ×3, first 2 shown]
	v_mul_f64 v[60:61], v[64:65], v[100:101]
	buffer_store_dword v98, off, s[60:63], 0 offset:684 ; 4-byte Folded Spill
	s_nop 0
	buffer_store_dword v99, off, s[60:63], 0 offset:688 ; 4-byte Folded Spill
	buffer_store_dword v100, off, s[60:63], 0 offset:692 ; 4-byte Folded Spill
	;; [unrolled: 1-line block ×3, first 2 shown]
	v_fmac_f64_e32 v[58:59], v[62:63], v[94:95]
	v_fmac_f64_e32 v[60:61], v[66:67], v[98:99]
	global_load_dwordx4 v[98:101], v70, s[2:3] offset:112
	global_load_dwordx4 v[94:97], v70, s[2:3] offset:96
	;; [unrolled: 1-line block ×4, first 2 shown]
	s_waitcnt vmcnt(0)
	v_mul_f64 v[48:49], v[34:35], v[68:69]
	v_fma_f64 v[48:49], v[32:33], v[66:67], -v[48:49]
	v_mul_f64 v[64:65], v[32:33], v[68:69]
	buffer_store_dword v66, off, s[60:63], 0 offset:700 ; 4-byte Folded Spill
	s_nop 0
	buffer_store_dword v67, off, s[60:63], 0 offset:704 ; 4-byte Folded Spill
	buffer_store_dword v68, off, s[60:63], 0 offset:708 ; 4-byte Folded Spill
	;; [unrolled: 1-line block ×3, first 2 shown]
	v_mul_f64 v[32:33], v[42:43], v[92:93]
	v_fma_f64 v[32:33], v[40:41], v[90:91], -v[32:33]
	v_accvgpr_write_b32 a53, v33
	v_accvgpr_write_b32 a52, v32
	v_mul_f64 v[32:33], v[46:47], v[96:97]
	v_fma_f64 v[32:33], v[44:45], v[94:95], -v[32:33]
	v_accvgpr_write_b32 a22, v32
	v_accvgpr_write_b32 a23, v33
	v_mul_f64 v[32:33], v[54:55], v[100:101]
	v_accvgpr_write_b32 a65, v49
	v_fma_f64 v[32:33], v[52:53], v[98:99], -v[32:33]
	v_accvgpr_write_b32 a64, v48
	v_accvgpr_write_b32 a8, v32
	;; [unrolled: 1-line block ×3, first 2 shown]
	v_accvgpr_mov_b32 a133, a53
	v_accvgpr_mov_b32 a132, a52
	;; [unrolled: 1-line block ×6, first 2 shown]
	v_fmac_f64_e32 v[64:65], v[34:35], v[66:67]
	v_mul_f64 v[66:67], v[40:41], v[92:93]
	buffer_store_dword v90, off, s[60:63], 0 offset:716 ; 4-byte Folded Spill
	s_nop 0
	buffer_store_dword v91, off, s[60:63], 0 offset:720 ; 4-byte Folded Spill
	buffer_store_dword v92, off, s[60:63], 0 offset:724 ; 4-byte Folded Spill
	;; [unrolled: 1-line block ×3, first 2 shown]
	v_fmac_f64_e32 v[66:67], v[42:43], v[90:91]
	v_mul_f64 v[42:43], v[44:45], v[96:97]
	buffer_store_dword v94, off, s[60:63], 0 offset:732 ; 4-byte Folded Spill
	s_nop 0
	buffer_store_dword v95, off, s[60:63], 0 offset:736 ; 4-byte Folded Spill
	buffer_store_dword v96, off, s[60:63], 0 offset:740 ; 4-byte Folded Spill
	;; [unrolled: 1-line block ×3, first 2 shown]
	v_mul_f64 v[44:45], v[52:53], v[100:101]
	buffer_store_dword v98, off, s[60:63], 0 offset:748 ; 4-byte Folded Spill
	s_nop 0
	buffer_store_dword v99, off, s[60:63], 0 offset:752 ; 4-byte Folded Spill
	buffer_store_dword v100, off, s[60:63], 0 offset:756 ; 4-byte Folded Spill
	;; [unrolled: 1-line block ×3, first 2 shown]
	v_fmac_f64_e32 v[42:43], v[46:47], v[94:95]
	global_load_dwordx4 v[46:49], v70, s[2:3] offset:176
	global_load_dwordx4 v[50:53], v70, s[2:3] offset:160
	global_load_dwordx4 v[90:93], v70, s[2:3] offset:144
	global_load_dwordx4 v[94:97], v70, s[2:3] offset:128
	v_fmac_f64_e32 v[44:45], v[54:55], v[98:99]
	s_waitcnt vmcnt(1)
	v_mul_f64 v[74:75], v[24:25], v[92:93]
	s_waitcnt vmcnt(0)
	v_mul_f64 v[32:33], v[18:19], v[96:97]
	v_fma_f64 v[32:33], v[16:17], v[94:95], -v[32:33]
	v_mul_f64 v[54:55], v[16:17], v[96:97]
	v_mul_f64 v[16:17], v[26:27], v[92:93]
	v_fma_f64 v[16:17], v[24:25], v[90:91], -v[16:17]
	v_accvgpr_write_b32 a25, v17
	v_accvgpr_write_b32 a24, v16
	v_mul_f64 v[16:17], v[30:31], v[52:53]
	buffer_store_dword v94, off, s[60:63], 0 offset:844 ; 4-byte Folded Spill
	s_nop 0
	buffer_store_dword v95, off, s[60:63], 0 offset:848 ; 4-byte Folded Spill
	buffer_store_dword v96, off, s[60:63], 0 offset:852 ; 4-byte Folded Spill
	;; [unrolled: 1-line block ×4, first 2 shown]
	s_nop 0
	buffer_store_dword v91, off, s[60:63], 0 offset:816 ; 4-byte Folded Spill
	buffer_store_dword v92, off, s[60:63], 0 offset:820 ; 4-byte Folded Spill
	;; [unrolled: 1-line block ×3, first 2 shown]
	v_fma_f64 v[16:17], v[28:29], v[50:51], -v[16:17]
	v_mul_f64 v[28:29], v[28:29], v[52:53]
	buffer_store_dword v50, off, s[60:63], 0 offset:780 ; 4-byte Folded Spill
	s_nop 0
	buffer_store_dword v51, off, s[60:63], 0 offset:784 ; 4-byte Folded Spill
	buffer_store_dword v52, off, s[60:63], 0 offset:788 ; 4-byte Folded Spill
	buffer_store_dword v53, off, s[60:63], 0 offset:792 ; 4-byte Folded Spill
	v_accvgpr_write_b32 a55, v17
	v_accvgpr_write_b32 a54, v16
	v_mul_f64 v[16:17], v[38:39], v[48:49]
	v_fma_f64 v[16:17], v[36:37], v[46:47], -v[16:17]
	v_accvgpr_write_b32 a10, v32
	v_accvgpr_write_b32 a11, v33
	;; [unrolled: 1-line block ×4, first 2 shown]
	v_add_f64 v[96:97], v[252:253], -v[146:147]
	v_mul_f64 v[128:129], v[96:97], s[30:31]
	v_accvgpr_mov_b32 a139, a55
	v_accvgpr_mov_b32 a138, a54
	;; [unrolled: 1-line block ×6, first 2 shown]
	v_fmac_f64_e32 v[54:55], v[18:19], v[94:95]
	v_fmac_f64_e32 v[74:75], v[26:27], v[90:91]
	v_add_f64 v[94:95], v[252:253], v[146:147]
	v_mul_f64 v[18:19], v[96:97], s[48:49]
	v_fmac_f64_e32 v[28:29], v[30:31], v[50:51]
	v_mul_f64 v[30:31], v[36:37], v[48:49]
	buffer_store_dword v46, off, s[60:63], 0 offset:764 ; 4-byte Folded Spill
	s_nop 0
	buffer_store_dword v47, off, s[60:63], 0 offset:768 ; 4-byte Folded Spill
	buffer_store_dword v48, off, s[60:63], 0 offset:772 ; 4-byte Folded Spill
	;; [unrolled: 1-line block ×3, first 2 shown]
	v_fmac_f64_e32 v[30:31], v[38:39], v[46:47]
	global_load_dwordx4 v[24:27], v70, s[2:3] offset:240
	global_load_dwordx4 v[32:35], v70, s[2:3] offset:224
	;; [unrolled: 1-line block ×4, first 2 shown]
	s_waitcnt vmcnt(2)
	v_mul_f64 v[104:105], v[12:13], v[34:35]
	s_waitcnt vmcnt(1)
	v_mul_f64 v[102:103], v[8:9], v[38:39]
	;; [unrolled: 2-line block ×3, first 2 shown]
	v_fma_f64 v[16:17], v[4:5], v[46:47], -v[16:17]
	v_mul_f64 v[100:101], v[4:5], v[48:49]
	v_mul_f64 v[4:5], v[10:11], v[38:39]
	v_fma_f64 v[4:5], v[8:9], v[36:37], -v[4:5]
	v_accvgpr_write_b32 a115, v5
	v_accvgpr_write_b32 a114, v4
	v_mul_f64 v[4:5], v[14:15], v[34:35]
	v_fma_f64 v[4:5], v[12:13], v[32:33], -v[4:5]
	v_accvgpr_write_b32 a123, v5
	v_accvgpr_write_b32 a122, v4
	v_mul_f64 v[4:5], v[22:23], v[26:27]
	buffer_store_dword v46, off, s[60:63], 0 offset:876 ; 4-byte Folded Spill
	s_nop 0
	buffer_store_dword v47, off, s[60:63], 0 offset:880 ; 4-byte Folded Spill
	buffer_store_dword v48, off, s[60:63], 0 offset:884 ; 4-byte Folded Spill
	buffer_store_dword v49, off, s[60:63], 0 offset:888 ; 4-byte Folded Spill
	buffer_store_dword v36, off, s[60:63], 0 offset:860 ; 4-byte Folded Spill
	s_nop 0
	buffer_store_dword v37, off, s[60:63], 0 offset:864 ; 4-byte Folded Spill
	buffer_store_dword v38, off, s[60:63], 0 offset:868 ; 4-byte Folded Spill
	buffer_store_dword v39, off, s[60:63], 0 offset:872 ; 4-byte Folded Spill
	;; [unrolled: 5-line block ×3, first 2 shown]
	v_fma_f64 v[70:71], v[20:21], v[24:25], -v[4:5]
	v_mul_f64 v[20:21], v[20:21], v[26:27]
	buffer_store_dword v24, off, s[60:63], 0 offset:796 ; 4-byte Folded Spill
	s_nop 0
	buffer_store_dword v25, off, s[60:63], 0 offset:800 ; 4-byte Folded Spill
	buffer_store_dword v26, off, s[60:63], 0 offset:804 ; 4-byte Folded Spill
	;; [unrolled: 1-line block ×3, first 2 shown]
	v_add_f64 v[4:5], v[0:1], v[252:253]
	v_add_f64 v[4:5], v[4:5], v[248:249]
	;; [unrolled: 1-line block ×14, first 2 shown]
	v_accvgpr_write_b32 a87, v17
	v_add_f64 v[4:5], v[4:5], v[150:151]
	v_accvgpr_write_b32 a86, v16
	v_add_f64 v[4:5], v[4:5], v[146:147]
	v_mul_f64 v[8:9], v[122:123], s[36:37]
	v_mul_f64 v[16:17], v[122:123], s[48:49]
	v_fma_f64 v[12:13], v[94:95], s[18:19], -v[16:17]
	v_fmac_f64_e32 v[16:17], s[18:19], v[94:95]
	v_add_f64 v[12:13], v[0:1], v[12:13]
	v_add_f64 v[16:17], v[0:1], v[16:17]
	v_add_f64 v[150:151], v[248:249], -v[150:151]
	v_accvgpr_write_b32 a151, v71
	v_accvgpr_write_b32 a150, v70
	v_accvgpr_mov_b32 a145, a87
	v_accvgpr_mov_b32 a144, a86
	;; [unrolled: 1-line block ×6, first 2 shown]
	s_waitcnt lgkmcnt(0)
	; wave barrier
	v_fmac_f64_e32 v[100:101], v[6:7], v[46:47]
	v_add_f64 v[6:7], v[2:3], v[250:251]
	v_add_f64 v[6:7], v[6:7], v[246:247]
	v_fmac_f64_e32 v[104:105], v[14:15], v[32:33]
	v_add_f64 v[6:7], v[6:7], v[242:243]
	v_fmac_f64_e32 v[20:21], v[22:23], v[24:25]
	v_mul_f64 v[24:25], v[122:123], s[50:51]
	v_fma_f64 v[26:27], v[94:95], s[16:17], -v[24:25]
	v_add_f64 v[22:23], v[250:251], v[140:141]
	v_add_f64 v[32:33], v[0:1], v[26:27]
	v_mul_f64 v[26:27], v[96:97], s[50:51]
	v_fmac_f64_e32 v[24:25], s[16:17], v[94:95]
	v_add_f64 v[6:7], v[6:7], v[238:239]
	v_add_f64 v[48:49], v[0:1], v[24:25]
	v_fma_f64 v[24:25], v[22:23], s[16:17], -v[26:27]
	v_add_f64 v[6:7], v[6:7], v[236:237]
	v_add_f64 v[50:51], v[2:3], v[24:25]
	v_mul_f64 v[24:25], v[122:123], s[44:45]
	v_add_f64 v[6:7], v[6:7], v[194:195]
	v_fma_f64 v[34:35], s[16:17], v[22:23], v[26:27]
	v_fma_f64 v[26:27], v[94:95], s[6:7], -v[24:25]
	v_add_f64 v[6:7], v[6:7], v[180:181]
	v_add_f64 v[56:57], v[0:1], v[26:27]
	v_mul_f64 v[26:27], v[96:97], s[44:45]
	v_fmac_f64_e32 v[24:25], s[6:7], v[94:95]
	v_add_f64 v[6:7], v[6:7], v[172:173]
	v_add_f64 v[68:69], v[0:1], v[24:25]
	v_fma_f64 v[24:25], v[22:23], s[6:7], -v[26:27]
	v_add_f64 v[6:7], v[6:7], v[174:175]
	v_add_f64 v[92:93], v[2:3], v[24:25]
	v_mul_f64 v[24:25], v[122:123], s[14:15]
	v_fmac_f64_e32 v[102:103], v[10:11], v[36:37]
	v_add_f64 v[6:7], v[6:7], v[184:185]
	v_fma_f64 v[36:37], s[6:7], v[22:23], v[26:27]
	v_fma_f64 v[26:27], v[94:95], s[12:13], -v[24:25]
	v_add_f64 v[6:7], v[6:7], v[168:169]
	v_add_f64 v[40:41], v[0:1], v[26:27]
	v_mul_f64 v[26:27], v[96:97], s[14:15]
	v_fmac_f64_e32 v[24:25], s[12:13], v[94:95]
	v_add_f64 v[6:7], v[6:7], v[160:161]
	v_add_f64 v[98:99], v[0:1], v[24:25]
	v_fma_f64 v[24:25], v[22:23], s[12:13], -v[26:27]
	v_add_f64 v[6:7], v[6:7], v[152:153]
	v_add_f64 v[120:121], v[2:3], v[24:25]
	v_mul_f64 v[24:25], v[122:123], s[22:23]
	v_add_f64 v[6:7], v[6:7], v[148:149]
	v_add_f64 v[62:63], v[2:3], v[36:37]
	v_fma_f64 v[36:37], s[12:13], v[22:23], v[26:27]
	v_fma_f64 v[26:27], v[94:95], s[20:21], -v[24:25]
	v_add_f64 v[6:7], v[6:7], v[144:145]
	v_add_f64 v[138:139], v[0:1], v[26:27]
	v_mul_f64 v[26:27], v[96:97], s[22:23]
	v_add_f64 v[6:7], v[6:7], v[140:141]
	v_add_f64 v[46:47], v[2:3], v[36:37]
	v_fma_f64 v[36:37], s[20:21], v[22:23], v[26:27]
	v_accvgpr_write_b32 a155, v7
	v_add_f64 v[140:141], v[2:3], v[36:37]
	v_mul_f64 v[36:37], v[122:123], s[30:31]
	v_fma_f64 v[130:131], s[28:29], v[22:23], v[128:129]
	v_fma_f64 v[128:129], v[22:23], s[28:29], -v[128:129]
	v_mul_f64 v[122:123], v[122:123], s[40:41]
	v_accvgpr_write_b32 a154, v6
	v_accvgpr_write_b32 a153, v5
	v_accvgpr_write_b32 a152, v4
	v_fma_f64 v[4:5], v[94:95], s[26:27], -v[8:9]
	v_mul_f64 v[10:11], v[96:97], s[36:37]
	v_fmac_f64_e32 v[8:9], s[26:27], v[94:95]
	v_fmac_f64_e32 v[24:25], s[20:21], v[94:95]
	v_fma_f64 v[38:39], v[94:95], s[28:29], -v[36:37]
	v_fmac_f64_e32 v[36:37], s[28:29], v[94:95]
	v_add_f64 v[146:147], v[2:3], v[128:129]
	v_fma_f64 v[128:129], v[94:95], s[38:39], -v[122:123]
	v_mul_f64 v[96:97], v[96:97], s[40:41]
	v_fmac_f64_e32 v[122:123], s[38:39], v[94:95]
	v_add_f64 v[4:5], v[0:1], v[4:5]
	v_add_f64 v[8:9], v[0:1], v[8:9]
	;; [unrolled: 1-line block ×7, first 2 shown]
	v_fma_f64 v[0:1], v[22:23], s[38:39], -v[96:97]
	v_add_f64 v[144:145], v[246:247], -v[144:145]
	v_fma_f64 v[6:7], s[26:27], v[22:23], v[10:11]
	v_fma_f64 v[10:11], v[22:23], s[26:27], -v[10:11]
	v_fma_f64 v[14:15], s[18:19], v[22:23], v[18:19]
	v_fma_f64 v[18:19], v[22:23], s[18:19], -v[18:19]
	v_fma_f64 v[26:27], v[22:23], s[20:21], -v[26:27]
	v_fma_f64 v[128:129], s[38:39], v[22:23], v[96:97]
	v_add_f64 v[90:91], v[2:3], v[0:1]
	v_mul_f64 v[0:1], v[144:145], s[48:49]
	v_add_f64 v[6:7], v[2:3], v[6:7]
	v_add_f64 v[10:11], v[2:3], v[10:11]
	;; [unrolled: 1-line block ×8, first 2 shown]
	v_fma_f64 v[2:3], v[214:215], s[18:19], -v[0:1]
	v_add_f64 v[94:95], v[2:3], v[4:5]
	v_mul_f64 v[2:3], v[150:151], s[48:49]
	v_fmac_f64_e32 v[0:1], s[18:19], v[214:215]
	v_add_f64 v[122:123], v[0:1], v[8:9]
	v_fma_f64 v[0:1], v[204:205], s[18:19], -v[2:3]
	v_add_f64 v[128:129], v[0:1], v[10:11]
	v_mul_f64 v[0:1], v[144:145], s[44:45]
	v_fma_f64 v[4:5], s[18:19], v[204:205], v[2:3]
	v_fma_f64 v[2:3], v[214:215], s[6:7], -v[0:1]
	v_add_f64 v[130:131], v[2:3], v[12:13]
	v_mul_f64 v[2:3], v[150:151], s[44:45]
	v_add_f64 v[96:97], v[4:5], v[6:7]
	v_fma_f64 v[4:5], s[6:7], v[204:205], v[2:3]
	v_fmac_f64_e32 v[0:1], s[6:7], v[214:215]
	v_add_f64 v[132:133], v[4:5], v[14:15]
	v_add_f64 v[134:135], v[0:1], v[16:17]
	v_fma_f64 v[0:1], v[204:205], s[6:7], -v[2:3]
	v_mul_f64 v[4:5], v[144:145], s[22:23]
	v_add_f64 v[136:137], v[0:1], v[18:19]
	v_fma_f64 v[0:1], v[214:215], s[20:21], -v[4:5]
	v_add_f64 v[0:1], v[0:1], v[32:33]
	v_mul_f64 v[32:33], v[150:151], s[54:55]
	v_mul_f64 v[6:7], v[150:151], s[22:23]
	v_fma_f64 v[18:19], s[28:29], v[204:205], v[32:33]
	v_fma_f64 v[2:3], s[20:21], v[204:205], v[6:7]
	v_fmac_f64_e32 v[4:5], s[20:21], v[214:215]
	v_add_f64 v[18:19], v[18:19], v[46:47]
	v_mul_f64 v[46:47], v[144:145], s[52:53]
	v_add_f64 v[2:3], v[2:3], v[34:35]
	v_add_f64 v[4:5], v[4:5], v[48:49]
	v_mul_f64 v[22:23], v[144:145], s[54:55]
	v_fma_f64 v[34:35], v[214:215], s[12:13], -v[46:47]
	v_mul_f64 v[48:49], v[150:151], s[52:53]
	v_fmac_f64_e32 v[46:47], s[12:13], v[214:215]
	v_fma_f64 v[16:17], v[214:215], s[28:29], -v[22:23]
	v_add_f64 v[46:47], v[46:47], v[24:25]
	v_fma_f64 v[24:25], v[204:205], s[12:13], -v[48:49]
	v_add_f64 v[16:17], v[16:17], v[40:41]
	v_fma_f64 v[40:41], s[12:13], v[204:205], v[48:49]
	v_add_f64 v[48:49], v[24:25], v[26:27]
	v_mul_f64 v[24:25], v[144:145], s[24:25]
	v_fma_f64 v[6:7], v[204:205], s[20:21], -v[6:7]
	v_mul_f64 v[14:15], v[150:151], s[40:41]
	v_fma_f64 v[26:27], v[214:215], s[16:17], -v[24:25]
	v_add_f64 v[6:7], v[6:7], v[50:51]
	v_mul_f64 v[12:13], v[144:145], s[40:41]
	v_fma_f64 v[10:11], s[38:39], v[204:205], v[14:15]
	v_add_f64 v[50:51], v[26:27], v[38:39]
	v_mul_f64 v[26:27], v[150:151], s[24:25]
	v_fmac_f64_e32 v[24:25], s[16:17], v[214:215]
	v_fma_f64 v[8:9], v[214:215], s[38:39], -v[12:13]
	v_add_f64 v[10:11], v[10:11], v[62:63]
	v_fmac_f64_e32 v[12:13], s[38:39], v[214:215]
	v_add_f64 v[62:63], v[24:25], v[36:37]
	v_fma_f64 v[24:25], v[204:205], s[16:17], -v[26:27]
	v_add_f64 v[12:13], v[12:13], v[68:69]
	v_add_f64 v[68:69], v[24:25], v[146:147]
	v_mul_f64 v[24:25], v[144:145], s[46:47]
	v_fma_f64 v[14:15], v[204:205], s[38:39], -v[14:15]
	v_fma_f64 v[38:39], s[16:17], v[204:205], v[26:27]
	v_fma_f64 v[26:27], v[214:215], s[26:27], -v[24:25]
	v_add_f64 v[14:15], v[14:15], v[92:93]
	v_fma_f64 v[32:33], v[204:205], s[28:29], -v[32:33]
	v_add_f64 v[92:93], v[26:27], v[250:251]
	v_mul_f64 v[26:27], v[150:151], s[46:47]
	v_fmac_f64_e32 v[24:25], s[26:27], v[214:215]
	v_add_f64 v[8:9], v[8:9], v[56:57]
	v_add_f64 v[32:33], v[32:33], v[120:121]
	;; [unrolled: 1-line block ×4, first 2 shown]
	v_fma_f64 v[24:25], v[204:205], s[26:27], -v[26:27]
	v_add_f64 v[38:39], v[242:243], -v[148:149]
	v_fmac_f64_e32 v[22:23], s[28:29], v[214:215]
	v_add_f64 v[34:35], v[34:35], v[138:139]
	v_fma_f64 v[36:37], s[26:27], v[204:205], v[26:27]
	v_add_f64 v[138:139], v[24:25], v[90:91]
	v_add_f64 v[24:25], v[244:245], v[154:155]
	v_mul_f64 v[52:53], v[38:39], s[50:51]
	v_add_f64 v[22:23], v[22:23], v[98:99]
	v_add_f64 v[98:99], v[36:37], v[252:253]
	v_add_f64 v[36:37], v[244:245], -v[154:155]
	v_fma_f64 v[90:91], v[24:25], s[16:17], -v[52:53]
	v_add_f64 v[26:27], v[242:243], v[148:149]
	v_add_f64 v[94:95], v[90:91], v[94:95]
	v_mul_f64 v[90:91], v[36:37], s[50:51]
	v_fmac_f64_e32 v[52:53], s[16:17], v[24:25]
	v_add_f64 v[122:123], v[52:53], v[122:123]
	v_fma_f64 v[52:53], v[26:27], s[16:17], -v[90:91]
	v_add_f64 v[128:129], v[52:53], v[128:129]
	v_mul_f64 v[52:53], v[38:39], s[22:23]
	v_add_f64 v[40:41], v[40:41], v[140:141]
	v_fma_f64 v[140:141], s[16:17], v[26:27], v[90:91]
	v_fma_f64 v[90:91], v[24:25], s[20:21], -v[52:53]
	v_add_f64 v[130:131], v[90:91], v[130:131]
	v_mul_f64 v[90:91], v[36:37], s[22:23]
	v_fmac_f64_e32 v[52:53], s[20:21], v[24:25]
	v_add_f64 v[134:135], v[52:53], v[134:135]
	v_fma_f64 v[52:53], v[26:27], s[20:21], -v[90:91]
	v_add_f64 v[136:137], v[52:53], v[136:137]
	v_mul_f64 v[52:53], v[38:39], s[58:59]
	v_add_f64 v[96:97], v[140:141], v[96:97]
	v_fma_f64 v[140:141], s[20:21], v[26:27], v[90:91]
	v_fma_f64 v[90:91], v[24:25], s[38:39], -v[52:53]
	;; [unrolled: 10-line block ×6, first 2 shown]
	v_add_f64 v[50:51], v[90:91], v[50:51]
	v_mul_f64 v[90:91], v[36:37], s[44:45]
	v_fmac_f64_e32 v[52:53], s[6:7], v[24:25]
	v_mul_f64 v[36:37], v[36:37], s[30:31]
	v_add_f64 v[40:41], v[140:141], v[40:41]
	v_fma_f64 v[140:141], s[6:7], v[26:27], v[90:91]
	v_add_f64 v[52:53], v[52:53], v[62:63]
	v_fma_f64 v[62:63], v[26:27], s[6:7], -v[90:91]
	v_mul_f64 v[38:39], v[38:39], s[30:31]
	v_fma_f64 v[90:91], s[28:29], v[26:27], v[36:37]
	v_add_f64 v[62:63], v[62:63], v[68:69]
	v_fma_f64 v[68:69], v[24:25], s[28:29], -v[38:39]
	v_add_f64 v[90:91], v[90:91], v[98:99]
	v_fmac_f64_e32 v[38:39], s[28:29], v[24:25]
	v_add_f64 v[98:99], v[238:239], -v[152:153]
	v_add_f64 v[24:25], v[38:39], v[120:121]
	v_fma_f64 v[26:27], v[26:27], s[28:29], -v[36:37]
	v_add_f64 v[36:37], v[240:241], v[162:163]
	v_mul_f64 v[120:121], v[98:99], s[44:45]
	v_add_f64 v[68:69], v[68:69], v[92:93]
	v_add_f64 v[26:27], v[26:27], v[138:139]
	v_add_f64 v[92:93], v[240:241], -v[162:163]
	v_fma_f64 v[138:139], v[36:37], s[6:7], -v[120:121]
	v_add_f64 v[38:39], v[238:239], v[152:153]
	v_add_f64 v[94:95], v[138:139], v[94:95]
	v_mul_f64 v[138:139], v[92:93], s[44:45]
	v_fmac_f64_e32 v[120:121], s[6:7], v[36:37]
	v_add_f64 v[120:121], v[120:121], v[122:123]
	v_fma_f64 v[122:123], v[38:39], s[6:7], -v[138:139]
	v_add_f64 v[122:123], v[122:123], v[128:129]
	v_mul_f64 v[128:129], v[98:99], s[40:41]
	v_add_f64 v[56:57], v[140:141], v[56:57]
	v_fma_f64 v[140:141], s[6:7], v[38:39], v[138:139]
	v_fma_f64 v[138:139], v[36:37], s[38:39], -v[128:129]
	v_add_f64 v[130:131], v[138:139], v[130:131]
	v_mul_f64 v[138:139], v[92:93], s[40:41]
	v_fmac_f64_e32 v[128:129], s[38:39], v[36:37]
	v_add_f64 v[128:129], v[128:129], v[134:135]
	v_fma_f64 v[134:135], v[38:39], s[38:39], -v[138:139]
	v_add_f64 v[134:135], v[134:135], v[136:137]
	v_mul_f64 v[136:137], v[98:99], s[52:53]
	v_add_f64 v[96:97], v[140:141], v[96:97]
	v_fma_f64 v[140:141], s[38:39], v[38:39], v[138:139]
	v_fma_f64 v[138:139], v[36:37], s[12:13], -v[136:137]
	;; [unrolled: 10-line block ×6, first 2 shown]
	v_add_f64 v[50:51], v[138:139], v[50:51]
	v_mul_f64 v[138:139], v[92:93], s[56:57]
	v_fmac_f64_e32 v[136:137], s[20:21], v[36:37]
	v_add_f64 v[52:53], v[136:137], v[52:53]
	v_fma_f64 v[136:137], v[38:39], s[20:21], -v[138:139]
	v_mul_f64 v[98:99], v[98:99], s[42:43]
	v_add_f64 v[62:63], v[136:137], v[62:63]
	v_fma_f64 v[136:137], v[36:37], s[18:19], -v[98:99]
	v_mul_f64 v[92:93], v[92:93], s[42:43]
	v_fmac_f64_e32 v[98:99], s[18:19], v[36:37]
	v_add_f64 v[68:69], v[136:137], v[68:69]
	v_fma_f64 v[136:137], s[18:19], v[38:39], v[92:93]
	v_add_f64 v[24:25], v[98:99], v[24:25]
	v_fma_f64 v[36:37], v[38:39], s[18:19], -v[92:93]
	v_add_f64 v[98:99], v[236:237], -v[160:161]
	v_add_f64 v[90:91], v[136:137], v[90:91]
	v_add_f64 v[26:27], v[36:37], v[26:27]
	;; [unrolled: 1-line block ×3, first 2 shown]
	v_mul_f64 v[136:137], v[98:99], s[14:15]
	v_add_f64 v[40:41], v[140:141], v[40:41]
	v_fma_f64 v[140:141], s[20:21], v[38:39], v[138:139]
	v_add_f64 v[92:93], v[234:235], -v[170:171]
	v_fma_f64 v[138:139], v[36:37], s[12:13], -v[136:137]
	v_add_f64 v[38:39], v[236:237], v[160:161]
	v_add_f64 v[94:95], v[138:139], v[94:95]
	v_mul_f64 v[138:139], v[92:93], s[14:15]
	v_fmac_f64_e32 v[136:137], s[12:13], v[36:37]
	v_add_f64 v[120:121], v[136:137], v[120:121]
	v_fma_f64 v[136:137], v[38:39], s[12:13], -v[138:139]
	v_add_f64 v[122:123], v[136:137], v[122:123]
	v_mul_f64 v[136:137], v[98:99], s[54:55]
	v_add_f64 v[56:57], v[140:141], v[56:57]
	v_fma_f64 v[140:141], s[12:13], v[38:39], v[138:139]
	v_fma_f64 v[138:139], v[36:37], s[28:29], -v[136:137]
	v_add_f64 v[130:131], v[138:139], v[130:131]
	v_mul_f64 v[138:139], v[92:93], s[54:55]
	v_fmac_f64_e32 v[136:137], s[28:29], v[36:37]
	v_add_f64 v[128:129], v[136:137], v[128:129]
	v_fma_f64 v[136:137], v[38:39], s[28:29], -v[138:139]
	v_add_f64 v[134:135], v[136:137], v[134:135]
	v_mul_f64 v[136:137], v[98:99], s[42:43]
	v_add_f64 v[96:97], v[140:141], v[96:97]
	v_fma_f64 v[140:141], s[28:29], v[38:39], v[138:139]
	v_fma_f64 v[138:139], v[36:37], s[18:19], -v[136:137]
	;; [unrolled: 10-line block ×6, first 2 shown]
	v_add_f64 v[50:51], v[138:139], v[50:51]
	v_mul_f64 v[138:139], v[92:93], s[36:37]
	v_fmac_f64_e32 v[136:137], s[26:27], v[36:37]
	v_add_f64 v[52:53], v[136:137], v[52:53]
	v_fma_f64 v[136:137], v[38:39], s[26:27], -v[138:139]
	v_mul_f64 v[98:99], v[98:99], s[22:23]
	v_add_f64 v[62:63], v[136:137], v[62:63]
	v_fma_f64 v[136:137], v[36:37], s[20:21], -v[98:99]
	v_mul_f64 v[92:93], v[92:93], s[22:23]
	v_fmac_f64_e32 v[98:99], s[20:21], v[36:37]
	v_add_f64 v[68:69], v[136:137], v[68:69]
	v_fma_f64 v[136:137], s[20:21], v[38:39], v[92:93]
	v_add_f64 v[24:25], v[98:99], v[24:25]
	v_fma_f64 v[36:37], v[38:39], s[20:21], -v[92:93]
	v_add_f64 v[98:99], v[194:195], -v[168:169]
	v_add_f64 v[90:91], v[136:137], v[90:91]
	v_add_f64 v[26:27], v[36:37], v[26:27]
	;; [unrolled: 1-line block ×3, first 2 shown]
	v_mul_f64 v[136:137], v[98:99], s[22:23]
	v_add_f64 v[40:41], v[140:141], v[40:41]
	v_fma_f64 v[140:141], s[26:27], v[38:39], v[138:139]
	v_add_f64 v[92:93], v[192:193], -v[232:233]
	v_fma_f64 v[138:139], v[36:37], s[20:21], -v[136:137]
	v_add_f64 v[38:39], v[194:195], v[168:169]
	v_add_f64 v[94:95], v[138:139], v[94:95]
	v_mul_f64 v[138:139], v[92:93], s[22:23]
	v_fmac_f64_e32 v[136:137], s[20:21], v[36:37]
	v_add_f64 v[120:121], v[136:137], v[120:121]
	v_fma_f64 v[136:137], v[38:39], s[20:21], -v[138:139]
	v_add_f64 v[122:123], v[136:137], v[122:123]
	v_mul_f64 v[136:137], v[98:99], s[52:53]
	v_add_f64 v[56:57], v[140:141], v[56:57]
	v_fma_f64 v[140:141], s[20:21], v[38:39], v[138:139]
	v_fma_f64 v[138:139], v[36:37], s[12:13], -v[136:137]
	v_add_f64 v[130:131], v[138:139], v[130:131]
	v_mul_f64 v[138:139], v[92:93], s[52:53]
	v_fmac_f64_e32 v[136:137], s[12:13], v[36:37]
	v_add_f64 v[128:129], v[136:137], v[128:129]
	v_fma_f64 v[136:137], v[38:39], s[12:13], -v[138:139]
	v_add_f64 v[134:135], v[136:137], v[134:135]
	v_mul_f64 v[136:137], v[98:99], s[36:37]
	v_add_f64 v[96:97], v[140:141], v[96:97]
	v_fma_f64 v[140:141], s[12:13], v[38:39], v[138:139]
	v_fma_f64 v[138:139], v[36:37], s[26:27], -v[136:137]
	;; [unrolled: 10-line block ×4, first 2 shown]
	v_add_f64 v[16:17], v[138:139], v[16:17]
	v_mul_f64 v[138:139], v[92:93], s[34:35]
	v_fmac_f64_e32 v[136:137], s[6:7], v[36:37]
	v_add_f64 v[22:23], v[136:137], v[22:23]
	v_fma_f64 v[136:137], v[38:39], s[6:7], -v[138:139]
	v_add_f64 v[10:11], v[140:141], v[10:11]
	v_fma_f64 v[140:141], s[6:7], v[38:39], v[138:139]
	v_add_f64 v[138:139], v[136:137], v[32:33]
	v_mul_f64 v[32:33], v[98:99], s[48:49]
	v_fma_f64 v[136:137], v[36:37], s[18:19], -v[32:33]
	v_add_f64 v[160:161], v[136:137], v[34:35]
	v_mul_f64 v[34:35], v[92:93], s[48:49]
	v_fmac_f64_e32 v[32:33], s[18:19], v[36:37]
	v_add_f64 v[46:47], v[32:33], v[46:47]
	v_fma_f64 v[32:33], v[38:39], s[18:19], -v[34:35]
	v_add_f64 v[170:171], v[32:33], v[48:49]
	v_mul_f64 v[32:33], v[98:99], s[40:41]
	v_fma_f64 v[136:137], s[18:19], v[38:39], v[34:35]
	v_fma_f64 v[34:35], v[36:37], s[38:39], -v[32:33]
	v_add_f64 v[192:193], v[34:35], v[50:51]
	v_mul_f64 v[34:35], v[92:93], s[40:41]
	v_fmac_f64_e32 v[32:33], s[38:39], v[36:37]
	v_add_f64 v[52:53], v[32:33], v[52:53]
	v_fma_f64 v[32:33], v[38:39], s[38:39], -v[34:35]
	v_add_f64 v[204:205], v[32:33], v[62:63]
	v_mul_f64 v[32:33], v[98:99], s[24:25]
	v_fma_f64 v[48:49], s[38:39], v[38:39], v[34:35]
	v_fma_f64 v[34:35], v[36:37], s[16:17], -v[32:33]
	v_add_f64 v[98:99], v[34:35], v[68:69]
	v_mul_f64 v[34:35], v[92:93], s[24:25]
	v_fmac_f64_e32 v[32:33], s[16:17], v[36:37]
	v_add_f64 v[194:195], v[48:49], v[56:57]
	v_fma_f64 v[48:49], s[16:17], v[38:39], v[34:35]
	v_add_f64 v[24:25], v[32:33], v[24:25]
	v_fma_f64 v[32:33], v[38:39], s[16:17], -v[34:35]
	v_add_f64 v[38:39], v[180:181], v[184:185]
	v_add_f64 v[180:181], v[180:181], -v[184:185]
	v_add_f64 v[26:27], v[32:33], v[26:27]
	v_add_f64 v[36:37], v[182:183], v[186:187]
	v_add_f64 v[92:93], v[182:183], -v[186:187]
	v_mul_f64 v[32:33], v[180:181], s[30:31]
	v_add_f64 v[90:91], v[48:49], v[90:91]
	v_fma_f64 v[34:35], v[36:37], s[28:29], -v[32:33]
	v_mul_f64 v[48:49], v[92:93], s[30:31]
	v_add_f64 v[94:95], v[34:35], v[94:95]
	v_fma_f64 v[34:35], s[28:29], v[38:39], v[48:49]
	v_fmac_f64_e32 v[32:33], s[28:29], v[36:37]
	v_add_f64 v[182:183], v[34:35], v[96:97]
	v_add_f64 v[34:35], v[32:33], v[120:121]
	v_fma_f64 v[32:33], v[38:39], s[28:29], -v[48:49]
	v_mul_f64 v[48:49], v[180:181], s[24:25]
	v_fma_f64 v[50:51], v[36:37], s[16:17], -v[48:49]
	v_add_f64 v[32:33], v[32:33], v[122:123]
	v_add_f64 v[122:123], v[50:51], v[130:131]
	v_mul_f64 v[50:51], v[92:93], s[24:25]
	v_fmac_f64_e32 v[48:49], s[16:17], v[36:37]
	v_fma_f64 v[56:57], s[16:17], v[38:39], v[50:51]
	v_add_f64 v[62:63], v[48:49], v[128:129]
	v_fma_f64 v[48:49], v[38:39], s[16:17], -v[50:51]
	v_mul_f64 v[68:69], v[180:181], s[44:45]
	v_add_f64 v[120:121], v[56:57], v[132:133]
	v_add_f64 v[56:57], v[48:49], v[134:135]
	v_fma_f64 v[48:49], v[36:37], s[6:7], -v[68:69]
	v_add_f64 v[50:51], v[48:49], v[0:1]
	v_mul_f64 v[0:1], v[92:93], s[44:45]
	v_fma_f64 v[48:49], s[6:7], v[38:39], v[0:1]
	v_fmac_f64_e32 v[68:69], s[6:7], v[36:37]
	v_fma_f64 v[0:1], v[38:39], s[6:7], -v[0:1]
	v_add_f64 v[40:41], v[136:137], v[40:41]
	v_add_f64 v[136:137], v[68:69], v[4:5]
	;; [unrolled: 1-line block ×3, first 2 shown]
	v_mul_f64 v[0:1], v[180:181], s[56:57]
	v_add_f64 v[48:49], v[48:49], v[2:3]
	v_fma_f64 v[2:3], v[36:37], s[20:21], -v[0:1]
	v_add_f64 v[18:19], v[140:141], v[18:19]
	v_add_f64 v[140:141], v[2:3], v[8:9]
	v_mul_f64 v[2:3], v[92:93], s[56:57]
	v_fmac_f64_e32 v[0:1], s[20:21], v[36:37]
	v_add_f64 v[144:145], v[0:1], v[12:13]
	v_fma_f64 v[0:1], v[38:39], s[20:21], -v[2:3]
	v_add_f64 v[146:147], v[0:1], v[14:15]
	v_mul_f64 v[0:1], v[180:181], s[36:37]
	v_fma_f64 v[4:5], s[20:21], v[38:39], v[2:3]
	v_fma_f64 v[2:3], v[36:37], s[26:27], -v[0:1]
	v_add_f64 v[148:149], v[2:3], v[16:17]
	v_mul_f64 v[2:3], v[92:93], s[36:37]
	v_fmac_f64_e32 v[0:1], s[26:27], v[36:37]
	v_add_f64 v[152:153], v[0:1], v[22:23]
	v_fma_f64 v[0:1], v[38:39], s[26:27], -v[2:3]
	v_add_f64 v[154:155], v[0:1], v[138:139]
	v_mul_f64 v[0:1], v[180:181], s[40:41]
	v_add_f64 v[142:143], v[4:5], v[10:11]
	v_fma_f64 v[4:5], s[26:27], v[38:39], v[2:3]
	v_fma_f64 v[2:3], v[36:37], s[38:39], -v[0:1]
	v_add_f64 v[160:161], v[2:3], v[160:161]
	v_mul_f64 v[2:3], v[92:93], s[40:41]
	v_fmac_f64_e32 v[0:1], s[38:39], v[36:37]
	v_add_f64 v[168:169], v[0:1], v[46:47]
	v_fma_f64 v[0:1], v[38:39], s[38:39], -v[2:3]
	v_add_f64 v[170:171], v[0:1], v[170:171]
	v_mul_f64 v[0:1], v[180:181], s[42:43]
	v_add_f64 v[150:151], v[4:5], v[18:19]
	;; [unrolled: 10-line block ×3, first 2 shown]
	v_fma_f64 v[4:5], s[18:19], v[38:39], v[2:3]
	v_fma_f64 v[2:3], v[36:37], s[12:13], -v[0:1]
	v_mul_f64 v[12:13], v[92:93], s[14:15]
	v_add_f64 v[6:7], v[2:3], v[98:99]
	v_fma_f64 v[2:3], s[12:13], v[38:39], v[12:13]
	v_fmac_f64_e32 v[0:1], s[12:13], v[36:37]
	v_add_f64 v[180:181], v[172:173], -v[174:175]
	v_add_f64 v[16:17], v[4:5], v[194:195]
	v_add_f64 v[4:5], v[2:3], v[90:91]
	;; [unrolled: 1-line block ×3, first 2 shown]
	v_fma_f64 v[0:1], v[38:39], s[12:13], -v[12:13]
	v_add_f64 v[14:15], v[176:177], v[178:179]
	v_mul_f64 v[24:25], v[180:181], s[40:41]
	v_add_f64 v[0:1], v[0:1], v[26:27]
	v_add_f64 v[22:23], v[176:177], -v[178:179]
	v_fma_f64 v[26:27], v[14:15], s[38:39], -v[24:25]
	v_add_f64 v[12:13], v[172:173], v[174:175]
	v_add_f64 v[38:39], v[26:27], v[94:95]
	v_mul_f64 v[26:27], v[22:23], s[40:41]
	v_fmac_f64_e32 v[24:25], s[38:39], v[14:15]
	v_fma_f64 v[36:37], s[38:39], v[12:13], v[26:27]
	v_add_f64 v[34:35], v[24:25], v[34:35]
	v_fma_f64 v[24:25], v[12:13], s[38:39], -v[26:27]
	v_add_f64 v[40:41], v[36:37], v[182:183]
	v_add_f64 v[36:37], v[24:25], v[32:33]
	v_mul_f64 v[24:25], v[180:181], s[46:47]
	v_fma_f64 v[26:27], v[14:15], s[26:27], -v[24:25]
	v_add_f64 v[128:129], v[26:27], v[122:123]
	v_mul_f64 v[26:27], v[22:23], s[46:47]
	v_fma_f64 v[32:33], s[26:27], v[12:13], v[26:27]
	v_fmac_f64_e32 v[24:25], s[26:27], v[14:15]
	v_accvgpr_write_b32 a165, v37
	v_add_f64 v[130:131], v[32:33], v[120:121]
	v_add_f64 v[32:33], v[24:25], v[62:63]
	v_fma_f64 v[24:25], v[12:13], s[26:27], -v[26:27]
	v_accvgpr_write_b32 a164, v36
	v_accvgpr_write_b32 a163, v35
	;; [unrolled: 1-line block ×3, first 2 shown]
	v_add_f64 v[34:35], v[24:25], v[56:57]
	v_mul_f64 v[24:25], v[180:181], s[30:31]
	v_fma_f64 v[26:27], v[14:15], s[28:29], -v[24:25]
	v_add_f64 v[132:133], v[26:27], v[50:51]
	v_mul_f64 v[26:27], v[22:23], s[30:31]
	v_fmac_f64_e32 v[24:25], s[28:29], v[14:15]
	v_add_f64 v[136:137], v[24:25], v[136:137]
	v_fma_f64 v[24:25], v[12:13], s[28:29], -v[26:27]
	v_accvgpr_write_b32 a173, v35
	v_add_f64 v[138:139], v[24:25], v[68:69]
	v_mul_f64 v[24:25], v[180:181], s[42:43]
	v_accvgpr_write_b32 a172, v34
	v_accvgpr_write_b32 a171, v33
	;; [unrolled: 1-line block ×3, first 2 shown]
	v_fma_f64 v[32:33], s[28:29], v[12:13], v[26:27]
	v_fma_f64 v[26:27], v[14:15], s[18:19], -v[24:25]
	v_add_f64 v[140:141], v[26:27], v[140:141]
	v_mul_f64 v[26:27], v[22:23], s[42:43]
	v_fmac_f64_e32 v[24:25], s[18:19], v[14:15]
	v_add_f64 v[144:145], v[24:25], v[144:145]
	v_fma_f64 v[24:25], v[12:13], s[18:19], -v[26:27]
	v_add_f64 v[146:147], v[24:25], v[146:147]
	v_mul_f64 v[24:25], v[180:181], s[22:23]
	v_add_f64 v[134:135], v[32:33], v[48:49]
	v_fma_f64 v[32:33], s[18:19], v[12:13], v[26:27]
	v_fma_f64 v[26:27], v[14:15], s[20:21], -v[24:25]
	v_add_f64 v[148:149], v[26:27], v[148:149]
	v_mul_f64 v[26:27], v[22:23], s[22:23]
	v_fmac_f64_e32 v[24:25], s[20:21], v[14:15]
	v_add_f64 v[152:153], v[24:25], v[152:153]
	v_fma_f64 v[24:25], v[12:13], s[20:21], -v[26:27]
	v_add_f64 v[154:155], v[24:25], v[154:155]
	v_mul_f64 v[24:25], v[180:181], s[24:25]
	v_add_f64 v[142:143], v[32:33], v[142:143]
	v_fma_f64 v[32:33], s[20:21], v[12:13], v[26:27]
	v_fma_f64 v[26:27], v[14:15], s[16:17], -v[24:25]
	v_add_f64 v[160:161], v[26:27], v[160:161]
	v_mul_f64 v[26:27], v[22:23], s[24:25]
	v_fmac_f64_e32 v[24:25], s[16:17], v[14:15]
	v_add_f64 v[168:169], v[24:25], v[168:169]
	v_fma_f64 v[24:25], v[12:13], s[16:17], -v[26:27]
	v_add_f64 v[170:171], v[24:25], v[170:171]
	v_mul_f64 v[24:25], v[180:181], s[14:15]
	v_add_f64 v[150:151], v[32:33], v[150:151]
	v_fma_f64 v[32:33], s[16:17], v[12:13], v[26:27]
	v_fma_f64 v[26:27], v[14:15], s[12:13], -v[24:25]
	v_add_f64 v[172:173], v[26:27], v[18:19]
	v_mul_f64 v[18:19], v[22:23], s[14:15]
	v_fmac_f64_e32 v[24:25], s[12:13], v[14:15]
	v_add_f64 v[176:177], v[24:25], v[10:11]
	v_fma_f64 v[10:11], v[12:13], s[12:13], -v[18:19]
	v_add_f64 v[178:179], v[10:11], v[8:9]
	v_mul_f64 v[8:9], v[180:181], s[34:35]
	v_fma_f64 v[10:11], v[14:15], s[6:7], -v[8:9]
	v_add_f64 v[180:181], v[10:11], v[6:7]
	v_mul_f64 v[6:7], v[22:23], s[34:35]
	v_fmac_f64_e32 v[8:9], s[6:7], v[14:15]
	v_add_f64 v[184:185], v[8:9], v[2:3]
	v_fma_f64 v[2:3], v[12:13], s[6:7], -v[6:7]
	v_add_f64 v[186:187], v[2:3], v[0:1]
	v_add_f64 v[2:3], v[82:83], v[224:225]
	;; [unrolled: 1-line block ×28, first 2 shown]
	v_accvgpr_write_b32 a169, v41
	v_fma_f64 v[26:27], s[12:13], v[12:13], v[18:19]
	v_add_f64 v[0:1], v[0:1], v[88:89]
	v_add_f64 v[2:3], v[2:3], v[220:221]
	v_add_f64 v[36:37], v[226:227], -v[230:231]
	v_accvgpr_write_b32 a168, v40
	v_accvgpr_write_b32 a167, v39
	;; [unrolled: 1-line block ×3, first 2 shown]
	v_add_f64 v[162:163], v[32:33], v[162:163]
	v_add_f64 v[174:175], v[26:27], v[16:17]
	v_fma_f64 v[10:11], s[6:7], v[12:13], v[6:7]
	v_add_f64 v[0:1], v[0:1], v[222:223]
	v_add_f64 v[194:195], v[2:3], v[228:229]
	v_add_f64 v[26:27], v[224:225], v[228:229]
	v_add_f64 v[38:39], v[224:225], -v[228:229]
	v_mul_f64 v[6:7], v[36:37], s[36:37]
	v_mul_f64 v[14:15], v[36:37], s[48:49]
	;; [unrolled: 1-line block ×8, first 2 shown]
	v_add_f64 v[182:183], v[10:11], v[4:5]
	v_add_f64 v[192:193], v[0:1], v[230:231]
	;; [unrolled: 1-line block ×3, first 2 shown]
	v_mul_f64 v[4:5], v[38:39], s[36:37]
	v_fma_f64 v[2:3], s[26:27], v[26:27], v[6:7]
	v_fma_f64 v[6:7], v[26:27], s[26:27], -v[6:7]
	v_mul_f64 v[12:13], v[38:39], s[48:49]
	v_fma_f64 v[10:11], s[18:19], v[26:27], v[14:15]
	v_fma_f64 v[14:15], v[26:27], s[18:19], -v[14:15]
	;; [unrolled: 3-line block ×8, first 2 shown]
	v_add_f64 v[2:3], v[82:83], v[2:3]
	v_add_f64 v[6:7], v[82:83], v[6:7]
	;; [unrolled: 1-line block ×14, first 2 shown]
	v_fma_f64 v[232:233], v[24:25], s[38:39], -v[38:39]
	v_add_f64 v[234:235], v[82:83], v[234:235]
	v_fmac_f64_e32 v[38:39], s[38:39], v[24:25]
	v_add_f64 v[26:27], v[82:83], v[26:27]
	v_add_f64 v[82:83], v[216:217], -v[220:221]
	v_fma_f64 v[0:1], v[24:25], s[26:27], -v[4:5]
	v_fmac_f64_e32 v[4:5], s[26:27], v[24:25]
	v_fma_f64 v[8:9], v[24:25], s[18:19], -v[12:13]
	v_fmac_f64_e32 v[12:13], s[18:19], v[24:25]
	;; [unrolled: 2-line block ×7, first 2 shown]
	v_add_f64 v[24:25], v[80:81], v[38:39]
	v_add_f64 v[36:37], v[218:219], v[222:223]
	;; [unrolled: 1-line block ×3, first 2 shown]
	v_mul_f64 v[216:217], v[82:83], s[48:49]
	v_add_f64 v[0:1], v[80:81], v[0:1]
	v_add_f64 v[4:5], v[80:81], v[4:5]
	;; [unrolled: 1-line block ×15, first 2 shown]
	v_add_f64 v[80:81], v[218:219], -v[222:223]
	v_fma_f64 v[218:219], v[36:37], s[18:19], -v[216:217]
	v_add_f64 v[0:1], v[218:219], v[0:1]
	v_mul_f64 v[218:219], v[80:81], s[48:49]
	v_fmac_f64_e32 v[216:217], s[18:19], v[36:37]
	v_add_f64 v[4:5], v[216:217], v[4:5]
	v_fma_f64 v[216:217], v[38:39], s[18:19], -v[218:219]
	v_add_f64 v[6:7], v[216:217], v[6:7]
	v_mul_f64 v[216:217], v[82:83], s[44:45]
	v_fma_f64 v[220:221], s[18:19], v[38:39], v[218:219]
	v_fma_f64 v[218:219], v[36:37], s[6:7], -v[216:217]
	v_add_f64 v[8:9], v[218:219], v[8:9]
	v_mul_f64 v[218:219], v[80:81], s[44:45]
	v_fmac_f64_e32 v[216:217], s[6:7], v[36:37]
	v_add_f64 v[12:13], v[216:217], v[12:13]
	v_fma_f64 v[216:217], v[38:39], s[6:7], -v[218:219]
	v_add_f64 v[14:15], v[216:217], v[14:15]
	v_mul_f64 v[216:217], v[82:83], s[22:23]
	v_add_f64 v[2:3], v[220:221], v[2:3]
	v_fma_f64 v[220:221], s[6:7], v[38:39], v[218:219]
	v_fma_f64 v[218:219], v[36:37], s[20:21], -v[216:217]
	v_add_f64 v[16:17], v[218:219], v[16:17]
	v_mul_f64 v[218:219], v[80:81], s[22:23]
	v_fmac_f64_e32 v[216:217], s[20:21], v[36:37]
	v_add_f64 v[22:23], v[216:217], v[22:23]
	v_fma_f64 v[216:217], v[38:39], s[20:21], -v[218:219]
	v_add_f64 v[32:33], v[216:217], v[32:33]
	v_mul_f64 v[216:217], v[82:83], s[40:41]
	v_add_f64 v[10:11], v[220:221], v[10:11]
	;; [unrolled: 10-line block ×5, first 2 shown]
	v_fma_f64 v[220:221], s[12:13], v[38:39], v[218:219]
	v_fma_f64 v[218:219], v[36:37], s[16:17], -v[216:217]
	v_fmac_f64_e32 v[216:217], s[16:17], v[36:37]
	v_mul_f64 v[82:83], v[82:83], s[46:47]
	v_add_f64 v[214:215], v[220:221], v[214:215]
	v_mul_f64 v[220:221], v[80:81], s[24:25]
	v_add_f64 v[216:217], v[216:217], v[224:225]
	v_fma_f64 v[224:225], v[36:37], s[26:27], -v[82:83]
	v_mul_f64 v[80:81], v[80:81], s[46:47]
	v_fmac_f64_e32 v[82:83], s[26:27], v[36:37]
	v_add_f64 v[24:25], v[82:83], v[24:25]
	v_fma_f64 v[36:37], v[38:39], s[26:27], -v[80:81]
	v_add_f64 v[82:83], v[208:209], -v[212:213]
	v_add_f64 v[218:219], v[218:219], v[226:227]
	v_fma_f64 v[226:227], s[26:27], v[38:39], v[80:81]
	v_add_f64 v[26:27], v[36:37], v[26:27]
	v_add_f64 v[36:37], v[254:255], v[88:89]
	v_add_f64 v[80:81], v[254:255], -v[88:89]
	v_mul_f64 v[88:89], v[82:83], s[50:51]
	v_fma_f64 v[222:223], s[16:17], v[38:39], v[220:221]
	v_fma_f64 v[220:221], v[38:39], s[16:17], -v[220:221]
	v_add_f64 v[38:39], v[208:209], v[212:213]
	v_fma_f64 v[208:209], v[36:37], s[16:17], -v[88:89]
	v_add_f64 v[0:1], v[208:209], v[0:1]
	v_mul_f64 v[208:209], v[80:81], s[50:51]
	v_fmac_f64_e32 v[88:89], s[16:17], v[36:37]
	v_add_f64 v[4:5], v[88:89], v[4:5]
	v_fma_f64 v[88:89], v[38:39], s[16:17], -v[208:209]
	v_add_f64 v[6:7], v[88:89], v[6:7]
	v_mul_f64 v[88:89], v[82:83], s[22:23]
	v_fma_f64 v[212:213], s[16:17], v[38:39], v[208:209]
	v_fma_f64 v[208:209], v[36:37], s[20:21], -v[88:89]
	v_add_f64 v[8:9], v[208:209], v[8:9]
	v_mul_f64 v[208:209], v[80:81], s[22:23]
	v_fmac_f64_e32 v[88:89], s[20:21], v[36:37]
	v_add_f64 v[12:13], v[88:89], v[12:13]
	v_fma_f64 v[88:89], v[38:39], s[20:21], -v[208:209]
	v_add_f64 v[14:15], v[88:89], v[14:15]
	v_mul_f64 v[88:89], v[82:83], s[58:59]
	v_add_f64 v[2:3], v[212:213], v[2:3]
	v_fma_f64 v[212:213], s[20:21], v[38:39], v[208:209]
	v_fma_f64 v[208:209], v[36:37], s[38:39], -v[88:89]
	v_add_f64 v[16:17], v[208:209], v[16:17]
	v_mul_f64 v[208:209], v[80:81], s[58:59]
	v_fmac_f64_e32 v[88:89], s[38:39], v[36:37]
	v_add_f64 v[22:23], v[88:89], v[22:23]
	v_fma_f64 v[88:89], v[38:39], s[38:39], -v[208:209]
	v_add_f64 v[32:33], v[88:89], v[32:33]
	v_mul_f64 v[88:89], v[82:83], s[52:53]
	v_add_f64 v[10:11], v[212:213], v[10:11]
	;; [unrolled: 10-line block ×5, first 2 shown]
	v_fma_f64 v[212:213], s[26:27], v[38:39], v[208:209]
	v_fma_f64 v[208:209], v[36:37], s[6:7], -v[204:205]
	v_fmac_f64_e32 v[204:205], s[6:7], v[36:37]
	v_mul_f64 v[82:83], v[82:83], s[30:31]
	v_add_f64 v[212:213], v[212:213], v[214:215]
	v_mul_f64 v[214:215], v[80:81], s[44:45]
	v_add_f64 v[204:205], v[204:205], v[216:217]
	v_fma_f64 v[216:217], v[36:37], s[28:29], -v[82:83]
	v_mul_f64 v[80:81], v[80:81], s[30:31]
	v_fmac_f64_e32 v[82:83], s[28:29], v[36:37]
	v_add_f64 v[220:221], v[220:221], v[228:229]
	v_add_f64 v[208:209], v[208:209], v[218:219]
	v_fma_f64 v[218:219], s[6:7], v[38:39], v[214:215]
	v_fma_f64 v[214:215], v[38:39], s[6:7], -v[214:215]
	v_add_f64 v[24:25], v[82:83], v[24:25]
	v_fma_f64 v[36:37], v[38:39], s[28:29], -v[80:81]
	v_add_f64 v[82:83], v[198:199], -v[202:203]
	v_add_f64 v[214:215], v[214:215], v[220:221]
	v_fma_f64 v[220:221], s[28:29], v[38:39], v[80:81]
	v_add_f64 v[26:27], v[36:37], v[26:27]
	v_add_f64 v[36:37], v[200:201], v[206:207]
	v_add_f64 v[38:39], v[198:199], v[202:203]
	v_mul_f64 v[198:199], v[82:83], s[44:45]
	v_add_f64 v[80:81], v[200:201], -v[206:207]
	v_fma_f64 v[200:201], v[36:37], s[6:7], -v[198:199]
	v_add_f64 v[0:1], v[200:201], v[0:1]
	v_mul_f64 v[200:201], v[80:81], s[44:45]
	v_fmac_f64_e32 v[198:199], s[6:7], v[36:37]
	v_add_f64 v[4:5], v[198:199], v[4:5]
	v_fma_f64 v[198:199], v[38:39], s[6:7], -v[200:201]
	v_add_f64 v[6:7], v[198:199], v[6:7]
	v_mul_f64 v[198:199], v[82:83], s[40:41]
	v_fma_f64 v[202:203], s[6:7], v[38:39], v[200:201]
	v_fma_f64 v[200:201], v[36:37], s[38:39], -v[198:199]
	v_add_f64 v[8:9], v[200:201], v[8:9]
	v_mul_f64 v[200:201], v[80:81], s[40:41]
	v_fmac_f64_e32 v[198:199], s[38:39], v[36:37]
	v_add_f64 v[12:13], v[198:199], v[12:13]
	v_fma_f64 v[198:199], v[38:39], s[38:39], -v[200:201]
	v_add_f64 v[14:15], v[198:199], v[14:15]
	v_mul_f64 v[198:199], v[82:83], s[52:53]
	v_add_f64 v[2:3], v[202:203], v[2:3]
	v_fma_f64 v[202:203], s[38:39], v[38:39], v[200:201]
	v_fma_f64 v[200:201], v[36:37], s[12:13], -v[198:199]
	v_add_f64 v[16:17], v[200:201], v[16:17]
	v_mul_f64 v[200:201], v[80:81], s[52:53]
	v_fmac_f64_e32 v[198:199], s[12:13], v[36:37]
	v_add_f64 v[22:23], v[198:199], v[22:23]
	v_fma_f64 v[198:199], v[38:39], s[12:13], -v[200:201]
	v_add_f64 v[32:33], v[198:199], v[32:33]
	v_mul_f64 v[198:199], v[82:83], s[46:47]
	v_add_f64 v[10:11], v[202:203], v[10:11]
	;; [unrolled: 10-line block ×5, first 2 shown]
	v_fma_f64 v[202:203], s[28:29], v[38:39], v[200:201]
	v_fma_f64 v[200:201], v[36:37], s[20:21], -v[198:199]
	v_mul_f64 v[206:207], v[80:81], s[56:57]
	v_fmac_f64_e32 v[198:199], s[20:21], v[36:37]
	v_mul_f64 v[82:83], v[82:83], s[42:43]
	v_add_f64 v[200:201], v[200:201], v[208:209]
	v_fma_f64 v[208:209], s[20:21], v[38:39], v[206:207]
	v_add_f64 v[198:199], v[198:199], v[204:205]
	v_fma_f64 v[204:205], v[38:39], s[20:21], -v[206:207]
	v_fma_f64 v[206:207], v[36:37], s[18:19], -v[82:83]
	v_mul_f64 v[80:81], v[80:81], s[42:43]
	v_fmac_f64_e32 v[82:83], s[18:19], v[36:37]
	v_add_f64 v[24:25], v[82:83], v[24:25]
	v_fma_f64 v[36:37], v[38:39], s[18:19], -v[80:81]
	v_add_f64 v[82:83], v[188:189], -v[106:107]
	v_add_f64 v[202:203], v[202:203], v[212:213]
	v_fma_f64 v[212:213], s[18:19], v[38:39], v[80:81]
	v_add_f64 v[26:27], v[36:37], v[26:27]
	v_add_f64 v[36:37], v[190:191], v[196:197]
	;; [unrolled: 1-line block ×3, first 2 shown]
	v_mul_f64 v[106:107], v[82:83], s[14:15]
	v_add_f64 v[80:81], v[190:191], -v[196:197]
	v_fma_f64 v[188:189], v[36:37], s[12:13], -v[106:107]
	v_add_f64 v[0:1], v[188:189], v[0:1]
	v_mul_f64 v[188:189], v[80:81], s[14:15]
	v_fmac_f64_e32 v[106:107], s[12:13], v[36:37]
	v_add_f64 v[4:5], v[106:107], v[4:5]
	v_fma_f64 v[106:107], v[38:39], s[12:13], -v[188:189]
	v_add_f64 v[6:7], v[106:107], v[6:7]
	v_mul_f64 v[106:107], v[82:83], s[54:55]
	v_fma_f64 v[190:191], s[12:13], v[38:39], v[188:189]
	v_fma_f64 v[188:189], v[36:37], s[28:29], -v[106:107]
	v_add_f64 v[8:9], v[188:189], v[8:9]
	v_mul_f64 v[188:189], v[80:81], s[54:55]
	v_fmac_f64_e32 v[106:107], s[28:29], v[36:37]
	v_add_f64 v[12:13], v[106:107], v[12:13]
	v_fma_f64 v[106:107], v[38:39], s[28:29], -v[188:189]
	v_add_f64 v[14:15], v[106:107], v[14:15]
	v_mul_f64 v[106:107], v[82:83], s[42:43]
	v_add_f64 v[2:3], v[190:191], v[2:3]
	v_fma_f64 v[190:191], s[28:29], v[38:39], v[188:189]
	v_fma_f64 v[188:189], v[36:37], s[18:19], -v[106:107]
	v_add_f64 v[16:17], v[188:189], v[16:17]
	v_mul_f64 v[188:189], v[80:81], s[42:43]
	v_fmac_f64_e32 v[106:107], s[18:19], v[36:37]
	v_add_f64 v[22:23], v[106:107], v[22:23]
	v_fma_f64 v[106:107], v[38:39], s[18:19], -v[188:189]
	v_add_f64 v[32:33], v[106:107], v[32:33]
	v_mul_f64 v[106:107], v[82:83], s[50:51]
	v_add_f64 v[10:11], v[190:191], v[10:11]
	;; [unrolled: 10-line block ×5, first 2 shown]
	v_fma_f64 v[190:191], s[6:7], v[38:39], v[188:189]
	v_fma_f64 v[188:189], v[36:37], s[26:27], -v[106:107]
	v_fmac_f64_e32 v[106:107], s[26:27], v[36:37]
	v_mul_f64 v[82:83], v[82:83], s[22:23]
	v_mul_f64 v[196:197], v[80:81], s[36:37]
	v_add_f64 v[106:107], v[106:107], v[198:199]
	v_fma_f64 v[198:199], v[36:37], s[20:21], -v[82:83]
	v_mul_f64 v[80:81], v[80:81], s[22:23]
	v_fmac_f64_e32 v[82:83], s[20:21], v[36:37]
	v_add_f64 v[24:25], v[82:83], v[24:25]
	v_fma_f64 v[36:37], v[38:39], s[20:21], -v[80:81]
	v_add_f64 v[82:83], v[156:157], -v[164:165]
	v_add_f64 v[190:191], v[190:191], v[202:203]
	v_add_f64 v[188:189], v[188:189], v[200:201]
	v_fma_f64 v[200:201], s[26:27], v[38:39], v[196:197]
	v_fma_f64 v[196:197], v[38:39], s[26:27], -v[196:197]
	v_fma_f64 v[202:203], s[20:21], v[38:39], v[80:81]
	v_add_f64 v[26:27], v[36:37], v[26:27]
	v_add_f64 v[36:37], v[158:159], v[166:167]
	;; [unrolled: 1-line block ×3, first 2 shown]
	v_mul_f64 v[156:157], v[82:83], s[22:23]
	v_add_f64 v[80:81], v[158:159], -v[166:167]
	v_fma_f64 v[158:159], v[36:37], s[20:21], -v[156:157]
	v_add_f64 v[0:1], v[158:159], v[0:1]
	v_mul_f64 v[158:159], v[80:81], s[22:23]
	v_fmac_f64_e32 v[156:157], s[20:21], v[36:37]
	v_add_f64 v[4:5], v[156:157], v[4:5]
	v_fma_f64 v[156:157], v[38:39], s[20:21], -v[158:159]
	v_add_f64 v[6:7], v[156:157], v[6:7]
	v_mul_f64 v[156:157], v[82:83], s[52:53]
	v_fma_f64 v[164:165], s[20:21], v[38:39], v[158:159]
	v_fma_f64 v[158:159], v[36:37], s[12:13], -v[156:157]
	v_add_f64 v[8:9], v[158:159], v[8:9]
	v_mul_f64 v[158:159], v[80:81], s[52:53]
	v_fmac_f64_e32 v[156:157], s[12:13], v[36:37]
	v_add_f64 v[12:13], v[156:157], v[12:13]
	v_fma_f64 v[156:157], v[38:39], s[12:13], -v[158:159]
	v_add_f64 v[14:15], v[156:157], v[14:15]
	v_mul_f64 v[156:157], v[82:83], s[36:37]
	v_add_f64 v[2:3], v[164:165], v[2:3]
	v_fma_f64 v[164:165], s[12:13], v[38:39], v[158:159]
	v_fma_f64 v[158:159], v[36:37], s[26:27], -v[156:157]
	v_add_f64 v[16:17], v[158:159], v[16:17]
	v_mul_f64 v[158:159], v[80:81], s[36:37]
	v_fmac_f64_e32 v[156:157], s[26:27], v[36:37]
	v_add_f64 v[22:23], v[156:157], v[22:23]
	v_fma_f64 v[156:157], v[38:39], s[26:27], -v[158:159]
	v_add_f64 v[156:157], v[156:157], v[32:33]
	v_mul_f64 v[32:33], v[82:83], s[30:31]
	v_add_f64 v[10:11], v[164:165], v[10:11]
	v_fma_f64 v[164:165], s[26:27], v[38:39], v[158:159]
	v_fma_f64 v[158:159], v[36:37], s[28:29], -v[32:33]
	v_add_f64 v[158:159], v[158:159], v[34:35]
	v_mul_f64 v[34:35], v[80:81], s[30:31]
	v_fmac_f64_e32 v[32:33], s[28:29], v[36:37]
	v_add_f64 v[204:205], v[204:205], v[214:215]
	v_add_f64 v[166:167], v[32:33], v[46:47]
	v_fma_f64 v[32:33], v[38:39], s[28:29], -v[34:35]
	v_add_f64 v[222:223], v[222:223], v[230:231]
	v_add_f64 v[196:197], v[196:197], v[204:205]
	;; [unrolled: 1-line block ×3, first 2 shown]
	v_mul_f64 v[32:33], v[82:83], s[34:35]
	v_add_f64 v[226:227], v[226:227], v[234:235]
	v_add_f64 v[218:219], v[218:219], v[222:223]
	v_add_f64 v[18:19], v[164:165], v[18:19]
	v_fma_f64 v[164:165], s[28:29], v[38:39], v[34:35]
	v_fma_f64 v[34:35], v[36:37], s[6:7], -v[32:33]
	v_add_f64 v[220:221], v[220:221], v[226:227]
	v_add_f64 v[208:209], v[208:209], v[218:219]
	;; [unrolled: 1-line block ×3, first 2 shown]
	v_mul_f64 v[34:35], v[80:81], s[34:35]
	v_fmac_f64_e32 v[32:33], s[6:7], v[36:37]
	v_add_f64 v[212:213], v[212:213], v[220:221]
	v_add_f64 v[200:201], v[200:201], v[208:209]
	;; [unrolled: 1-line block ×3, first 2 shown]
	v_fma_f64 v[32:33], v[38:39], s[6:7], -v[34:35]
	v_add_f64 v[202:203], v[202:203], v[212:213]
	v_add_f64 v[212:213], v[32:33], v[56:57]
	v_mul_f64 v[32:33], v[82:83], s[48:49]
	v_add_f64 v[164:165], v[164:165], v[40:41]
	v_fma_f64 v[40:41], s[6:7], v[38:39], v[34:35]
	v_fma_f64 v[34:35], v[36:37], s[18:19], -v[32:33]
	v_add_f64 v[224:225], v[224:225], v[232:233]
	v_add_f64 v[90:91], v[34:35], v[90:91]
	v_mul_f64 v[34:35], v[80:81], s[48:49]
	v_fmac_f64_e32 v[32:33], s[18:19], v[36:37]
	v_add_f64 v[216:217], v[216:217], v[224:225]
	v_add_f64 v[214:215], v[32:33], v[68:69]
	v_fma_f64 v[32:33], v[38:39], s[18:19], -v[34:35]
	v_add_f64 v[206:207], v[206:207], v[216:217]
	v_add_f64 v[88:89], v[32:33], v[88:89]
	v_mul_f64 v[32:33], v[82:83], s[40:41]
	v_add_f64 v[198:199], v[198:199], v[206:207]
	v_add_f64 v[206:207], v[40:41], v[62:63]
	v_fma_f64 v[40:41], s[18:19], v[38:39], v[34:35]
	v_fma_f64 v[34:35], v[36:37], s[38:39], -v[32:33]
	v_add_f64 v[216:217], v[34:35], v[188:189]
	v_mul_f64 v[34:35], v[80:81], s[40:41]
	v_fmac_f64_e32 v[32:33], s[38:39], v[36:37]
	v_add_f64 v[106:107], v[32:33], v[106:107]
	v_fma_f64 v[32:33], v[38:39], s[38:39], -v[34:35]
	v_add_f64 v[196:197], v[32:33], v[196:197]
	v_mul_f64 v[32:33], v[82:83], s[24:25]
	v_add_f64 v[190:191], v[40:41], v[190:191]
	v_fma_f64 v[40:41], s[38:39], v[38:39], v[34:35]
	v_fma_f64 v[34:35], v[36:37], s[16:17], -v[32:33]
	v_add_f64 v[82:83], v[34:35], v[198:199]
	v_mul_f64 v[34:35], v[80:81], s[24:25]
	v_fmac_f64_e32 v[32:33], s[16:17], v[36:37]
	v_add_f64 v[200:201], v[40:41], v[200:201]
	v_fma_f64 v[40:41], s[16:17], v[38:39], v[34:35]
	v_add_f64 v[24:25], v[32:33], v[24:25]
	v_fma_f64 v[32:33], v[38:39], s[16:17], -v[34:35]
	v_add_f64 v[38:39], v[116:117], v[124:125]
	v_add_f64 v[124:125], v[116:117], -v[124:125]
	v_add_f64 v[26:27], v[32:33], v[26:27]
	v_add_f64 v[36:37], v[118:119], v[126:127]
	v_mul_f64 v[32:33], v[124:125], s[30:31]
	v_add_f64 v[126:127], v[118:119], -v[126:127]
	v_fma_f64 v[34:35], v[36:37], s[28:29], -v[32:33]
	v_add_f64 v[198:199], v[34:35], v[0:1]
	v_mul_f64 v[0:1], v[126:127], s[30:31]
	v_fma_f64 v[34:35], s[28:29], v[38:39], v[0:1]
	v_fma_f64 v[0:1], v[38:39], s[28:29], -v[0:1]
	v_add_f64 v[80:81], v[40:41], v[202:203]
	v_add_f64 v[40:41], v[0:1], v[6:7]
	v_mul_f64 v[0:1], v[124:125], s[24:25]
	v_add_f64 v[202:203], v[34:35], v[2:3]
	v_fma_f64 v[2:3], v[36:37], s[16:17], -v[0:1]
	v_add_f64 v[34:35], v[2:3], v[8:9]
	v_mul_f64 v[2:3], v[126:127], s[24:25]
	v_fmac_f64_e32 v[0:1], s[16:17], v[36:37]
	v_add_f64 v[62:63], v[0:1], v[12:13]
	v_fma_f64 v[0:1], v[38:39], s[16:17], -v[2:3]
	v_fmac_f64_e32 v[32:33], s[28:29], v[36:37]
	v_add_f64 v[56:57], v[0:1], v[14:15]
	v_mul_f64 v[0:1], v[124:125], s[44:45]
	v_add_f64 v[46:47], v[32:33], v[4:5]
	v_fma_f64 v[4:5], s[16:17], v[38:39], v[2:3]
	v_fma_f64 v[2:3], v[36:37], s[6:7], -v[0:1]
	v_add_f64 v[50:51], v[2:3], v[16:17]
	v_mul_f64 v[2:3], v[126:127], s[44:45]
	v_add_f64 v[32:33], v[4:5], v[10:11]
	v_fma_f64 v[4:5], s[6:7], v[38:39], v[2:3]
	v_fmac_f64_e32 v[0:1], s[6:7], v[36:37]
	v_add_f64 v[48:49], v[4:5], v[18:19]
	v_add_f64 v[188:189], v[0:1], v[22:23]
	v_fma_f64 v[0:1], v[38:39], s[6:7], -v[2:3]
	v_mul_f64 v[4:5], v[124:125], s[56:57]
	v_mul_f64 v[16:17], v[124:125], s[40:41]
	v_add_f64 v[68:69], v[0:1], v[156:157]
	v_fma_f64 v[0:1], v[36:37], s[20:21], -v[4:5]
	v_fmac_f64_e32 v[4:5], s[20:21], v[36:37]
	v_fma_f64 v[18:19], v[36:37], s[38:39], -v[16:17]
	v_mul_f64 v[6:7], v[126:127], s[56:57]
	v_add_f64 v[4:5], v[4:5], v[166:167]
	v_add_f64 v[166:167], v[18:19], v[90:91]
	v_mul_f64 v[18:19], v[126:127], s[40:41]
	v_fma_f64 v[2:3], s[20:21], v[38:39], v[6:7]
	v_mul_f64 v[12:13], v[124:125], s[36:37]
	v_fma_f64 v[22:23], s[38:39], v[38:39], v[18:19]
	v_fmac_f64_e32 v[16:17], s[38:39], v[36:37]
	v_add_f64 v[0:1], v[0:1], v[158:159]
	v_add_f64 v[2:3], v[2:3], v[164:165]
	v_fma_f64 v[8:9], v[36:37], s[26:27], -v[12:13]
	v_add_f64 v[164:165], v[22:23], v[190:191]
	v_add_f64 v[158:159], v[16:17], v[214:215]
	v_fma_f64 v[16:17], v[38:39], s[38:39], -v[18:19]
	v_mul_f64 v[22:23], v[124:125], s[42:43]
	v_add_f64 v[8:9], v[8:9], v[52:53]
	v_add_f64 v[156:157], v[16:17], v[88:89]
	v_fma_f64 v[16:17], v[36:37], s[18:19], -v[22:23]
	v_mul_f64 v[52:53], v[126:127], s[42:43]
	v_fmac_f64_e32 v[22:23], s[18:19], v[36:37]
	v_add_f64 v[118:119], v[22:23], v[106:107]
	v_fma_f64 v[22:23], v[38:39], s[18:19], -v[52:53]
	v_add_f64 v[116:117], v[22:23], v[196:197]
	v_mul_f64 v[22:23], v[124:125], s[14:15]
	v_fma_f64 v[18:19], s[18:19], v[38:39], v[52:53]
	v_fma_f64 v[52:53], v[36:37], s[12:13], -v[22:23]
	v_add_f64 v[106:107], v[52:53], v[82:83]
	v_mul_f64 v[52:53], v[126:127], s[14:15]
	v_fma_f64 v[82:83], s[12:13], v[38:39], v[52:53]
	v_fmac_f64_e32 v[22:23], s[12:13], v[36:37]
	v_add_f64 v[124:125], v[108:109], v[110:111]
	v_add_f64 v[108:109], v[108:109], -v[110:111]
	v_mul_f64 v[14:15], v[126:127], s[36:37]
	v_add_f64 v[82:83], v[82:83], v[80:81]
	v_add_f64 v[80:81], v[22:23], v[24:25]
	v_fma_f64 v[22:23], v[38:39], s[12:13], -v[52:53]
	v_add_f64 v[126:127], v[112:113], v[114:115]
	v_mul_f64 v[24:25], v[108:109], s[40:41]
	v_add_f64 v[22:23], v[22:23], v[26:27]
	v_add_f64 v[112:113], v[112:113], -v[114:115]
	v_fma_f64 v[26:27], v[126:127], s[38:39], -v[24:25]
	v_add_f64 v[18:19], v[18:19], v[200:201]
	v_add_f64 v[200:201], v[26:27], v[198:199]
	v_mul_f64 v[26:27], v[112:113], s[40:41]
	v_fmac_f64_e32 v[24:25], s[38:39], v[126:127]
	v_add_f64 v[196:197], v[24:25], v[46:47]
	v_fma_f64 v[24:25], v[124:125], s[38:39], -v[26:27]
	v_add_f64 v[198:199], v[24:25], v[40:41]
	v_mul_f64 v[24:25], v[108:109], s[46:47]
	v_fmac_f64_e32 v[12:13], s[26:27], v[36:37]
	v_fma_f64 v[36:37], s[38:39], v[124:125], v[26:27]
	v_fma_f64 v[26:27], v[126:127], s[26:27], -v[24:25]
	v_add_f64 v[96:97], v[26:27], v[34:35]
	v_mul_f64 v[26:27], v[112:113], s[46:47]
	v_fma_f64 v[34:35], s[26:27], v[124:125], v[26:27]
	v_add_f64 v[98:99], v[34:35], v[32:33]
	v_mul_f64 v[32:33], v[108:109], s[30:31]
	v_fma_f64 v[34:35], v[126:127], s[28:29], -v[32:33]
	v_add_f64 v[16:17], v[16:17], v[216:217]
	v_add_f64 v[216:217], v[34:35], v[50:51]
	v_mul_f64 v[34:35], v[112:113], s[30:31]
	v_fmac_f64_e32 v[32:33], s[28:29], v[126:127]
	v_add_f64 v[220:221], v[32:33], v[188:189]
	v_fma_f64 v[32:33], v[124:125], s[28:29], -v[34:35]
	v_add_f64 v[222:223], v[32:33], v[68:69]
	v_mul_f64 v[32:33], v[108:109], s[42:43]
	v_fma_f64 v[40:41], s[28:29], v[124:125], v[34:35]
	v_fma_f64 v[34:35], v[126:127], s[18:19], -v[32:33]
	v_fma_f64 v[6:7], v[38:39], s[20:21], -v[6:7]
	v_add_f64 v[92:93], v[34:35], v[0:1]
	v_mul_f64 v[34:35], v[112:113], s[42:43]
	v_fmac_f64_e32 v[32:33], s[18:19], v[126:127]
	v_add_f64 v[6:7], v[6:7], v[204:205]
	v_add_f64 v[202:203], v[36:37], v[202:203]
	;; [unrolled: 1-line block ×3, first 2 shown]
	v_fma_f64 v[32:33], v[124:125], s[18:19], -v[34:35]
	v_fma_f64 v[10:11], s[26:27], v[38:39], v[14:15]
	v_fma_f64 v[14:15], v[38:39], s[26:27], -v[14:15]
	v_add_f64 v[38:39], v[32:33], v[6:7]
	v_mul_f64 v[32:33], v[108:109], s[22:23]
	v_fmac_f64_e32 v[24:25], s[26:27], v[126:127]
	v_add_f64 v[218:219], v[40:41], v[48:49]
	v_fma_f64 v[40:41], s[18:19], v[124:125], v[34:35]
	v_fma_f64 v[34:35], v[126:127], s[20:21], -v[32:33]
	v_add_f64 v[12:13], v[12:13], v[208:209]
	v_add_f64 v[120:121], v[24:25], v[62:63]
	;; [unrolled: 1-line block ×3, first 2 shown]
	v_mul_f64 v[34:35], v[112:113], s[22:23]
	v_fmac_f64_e32 v[32:33], s[20:21], v[126:127]
	v_add_f64 v[14:15], v[14:15], v[212:213]
	v_add_f64 v[12:13], v[32:33], v[12:13]
	v_fma_f64 v[32:33], v[124:125], s[20:21], -v[34:35]
	v_add_f64 v[14:15], v[32:33], v[14:15]
	v_mul_f64 v[32:33], v[108:109], s[24:25]
	v_add_f64 v[94:95], v[40:41], v[2:3]
	v_fma_f64 v[40:41], s[20:21], v[124:125], v[34:35]
	v_fma_f64 v[34:35], v[126:127], s[16:17], -v[32:33]
	v_add_f64 v[224:225], v[34:35], v[166:167]
	v_mul_f64 v[34:35], v[112:113], s[24:25]
	v_fmac_f64_e32 v[32:33], s[16:17], v[126:127]
	v_add_f64 v[232:233], v[32:33], v[158:159]
	v_fma_f64 v[32:33], v[124:125], s[16:17], -v[34:35]
	v_add_f64 v[10:11], v[10:11], v[206:207]
	v_fma_f64 v[26:27], v[124:125], s[26:27], -v[26:27]
	v_add_f64 v[234:235], v[32:33], v[156:157]
	v_mul_f64 v[32:33], v[108:109], s[14:15]
	v_add_f64 v[122:123], v[26:27], v[56:57]
	v_add_f64 v[26:27], v[40:41], v[10:11]
	v_fma_f64 v[40:41], s[16:17], v[124:125], v[34:35]
	v_fma_f64 v[34:35], v[126:127], s[12:13], -v[32:33]
	v_add_f64 v[16:17], v[34:35], v[16:17]
	v_mul_f64 v[34:35], v[112:113], s[14:15]
	v_fmac_f64_e32 v[32:33], s[12:13], v[126:127]
	v_add_f64 v[236:237], v[32:33], v[118:119]
	v_fma_f64 v[32:33], v[124:125], s[12:13], -v[34:35]
	v_add_f64 v[238:239], v[32:33], v[116:117]
	v_mul_f64 v[32:33], v[108:109], s[34:35]
	v_add_f64 v[226:227], v[40:41], v[164:165]
	v_fma_f64 v[40:41], s[12:13], v[124:125], v[34:35]
	v_fma_f64 v[34:35], v[126:127], s[6:7], -v[32:33]
	v_add_f64 v[248:249], v[34:35], v[106:107]
	v_mul_f64 v[34:35], v[112:113], s[34:35]
	v_fmac_f64_e32 v[32:33], s[6:7], v[126:127]
	v_add_f64 v[252:253], v[32:33], v[80:81]
	v_fma_f64 v[32:33], v[124:125], s[6:7], -v[34:35]
	v_add_f64 v[204:205], v[84:85], -v[20:21]
	v_add_f64 v[254:255], v[32:33], v[22:23]
	v_add_f64 v[52:53], v[86:87], v[70:71]
	v_add_f64 v[90:91], v[86:87], -v[70:71]
	v_mul_f64 v[32:33], v[204:205], s[36:37]
	v_mul_f64 v[48:49], v[204:205], s[48:49]
	;; [unrolled: 1-line block ×8, first 2 shown]
	v_add_f64 v[18:19], v[40:41], v[18:19]
	v_fma_f64 v[40:41], s[6:7], v[124:125], v[34:35]
	v_add_f64 v[88:89], v[84:85], v[20:21]
	v_mul_f64 v[34:35], v[90:91], s[36:37]
	v_mul_f64 v[50:51], v[90:91], s[48:49]
	;; [unrolled: 1-line block ×7, first 2 shown]
	v_fma_f64 v[206:207], v[52:53], s[38:39], -v[204:205]
	v_mul_f64 v[90:91], v[90:91], s[40:41]
	v_fmac_f64_e32 v[204:205], s[38:39], v[52:53]
	v_accvgpr_read_b32 v0, a120
	v_accvgpr_read_b32 v2, a122
	v_add_f64 v[250:251], v[40:41], v[82:83]
	v_fma_f64 v[22:23], v[52:53], s[26:27], -v[32:33]
	v_fmac_f64_e32 v[32:33], s[26:27], v[52:53]
	v_fma_f64 v[40:41], v[52:53], s[18:19], -v[48:49]
	v_fmac_f64_e32 v[48:49], s[18:19], v[52:53]
	;; [unrolled: 2-line block ×7, first 2 shown]
	v_fma_f64 v[212:213], s[38:39], v[88:89], v[90:91]
	v_add_f64 v[230:231], v[76:77], v[204:205]
	v_fma_f64 v[52:53], v[88:89], s[38:39], -v[90:91]
	v_accvgpr_read_b32 v1, a121
	v_accvgpr_read_b32 v3, a123
	v_add_f64 v[204:205], v[72:73], -v[104:105]
	v_add_f64 v[228:229], v[78:79], v[212:213]
	v_add_f64 v[240:241], v[78:79], v[52:53]
	;; [unrolled: 1-line block ×3, first 2 shown]
	v_mul_f64 v[212:213], v[204:205], s[48:49]
	v_add_f64 v[208:209], v[76:77], v[22:23]
	v_add_f64 v[90:91], v[0:1], -v[2:3]
	v_fma_f64 v[214:215], v[52:53], s[18:19], -v[212:213]
	v_fma_f64 v[22:23], s[26:27], v[88:89], v[34:35]
	v_fma_f64 v[34:35], v[88:89], s[26:27], -v[34:35]
	v_fma_f64 v[46:47], s[18:19], v[88:89], v[50:51]
	;; [unrolled: 2-line block ×7, first 2 shown]
	v_fma_f64 v[190:191], v[88:89], s[28:29], -v[190:191]
	v_add_f64 v[88:89], v[72:73], v[104:105]
	v_add_f64 v[242:243], v[214:215], v[208:209]
	v_mul_f64 v[208:209], v[90:91], s[48:49]
	v_add_f64 v[34:35], v[78:79], v[34:35]
	v_fma_f64 v[214:215], s[18:19], v[88:89], v[208:209]
	v_fma_f64 v[208:209], v[88:89], s[18:19], -v[208:209]
	v_add_f64 v[32:33], v[76:77], v[32:33]
	v_fmac_f64_e32 v[212:213], s[18:19], v[52:53]
	v_add_f64 v[34:35], v[208:209], v[34:35]
	v_mul_f64 v[208:209], v[204:205], s[44:45]
	v_add_f64 v[40:41], v[76:77], v[40:41]
	v_add_f64 v[32:33], v[212:213], v[32:33]
	v_fma_f64 v[212:213], v[52:53], s[6:7], -v[208:209]
	v_add_f64 v[48:49], v[76:77], v[48:49]
	v_add_f64 v[40:41], v[212:213], v[40:41]
	v_mul_f64 v[212:213], v[90:91], s[44:45]
	v_fmac_f64_e32 v[208:209], s[6:7], v[52:53]
	v_add_f64 v[50:51], v[78:79], v[50:51]
	v_add_f64 v[48:49], v[208:209], v[48:49]
	v_fma_f64 v[208:209], v[88:89], s[6:7], -v[212:213]
	v_add_f64 v[22:23], v[78:79], v[22:23]
	v_add_f64 v[50:51], v[208:209], v[50:51]
	v_mul_f64 v[208:209], v[204:205], s[22:23]
	v_add_f64 v[56:57], v[76:77], v[56:57]
	v_add_f64 v[22:23], v[214:215], v[22:23]
	v_fma_f64 v[214:215], s[6:7], v[88:89], v[212:213]
	v_fma_f64 v[212:213], v[52:53], s[20:21], -v[208:209]
	v_add_f64 v[68:69], v[76:77], v[68:69]
	v_add_f64 v[56:57], v[212:213], v[56:57]
	v_mul_f64 v[212:213], v[90:91], s[22:23]
	v_fmac_f64_e32 v[208:209], s[20:21], v[52:53]
	v_add_f64 v[80:81], v[78:79], v[80:81]
	v_add_f64 v[68:69], v[208:209], v[68:69]
	v_fma_f64 v[208:209], v[88:89], s[20:21], -v[212:213]
	v_add_f64 v[46:47], v[78:79], v[46:47]
	v_add_f64 v[80:81], v[208:209], v[80:81]
	v_mul_f64 v[208:209], v[204:205], s[40:41]
	v_add_f64 v[82:83], v[76:77], v[82:83]
	v_add_f64 v[46:47], v[214:215], v[46:47]
	v_fma_f64 v[214:215], s[20:21], v[88:89], v[212:213]
	;; [unrolled: 14-line block ×5, first 2 shown]
	v_fma_f64 v[212:213], v[52:53], s[16:17], -v[208:209]
	v_add_f64 v[188:189], v[76:77], v[188:189]
	v_add_f64 v[164:165], v[212:213], v[164:165]
	v_mul_f64 v[212:213], v[90:91], s[24:25]
	v_fmac_f64_e32 v[208:209], s[16:17], v[52:53]
	v_add_f64 v[126:127], v[78:79], v[126:127]
	v_add_f64 v[190:191], v[78:79], v[190:191]
	;; [unrolled: 1-line block ×3, first 2 shown]
	v_fma_f64 v[208:209], v[88:89], s[16:17], -v[212:213]
	v_mul_f64 v[204:205], v[204:205], s[46:47]
	v_add_f64 v[166:167], v[78:79], v[166:167]
	v_add_f64 v[206:207], v[76:77], v[206:207]
	;; [unrolled: 1-line block ×3, first 2 shown]
	v_fma_f64 v[214:215], s[16:17], v[88:89], v[212:213]
	v_add_f64 v[190:191], v[208:209], v[190:191]
	v_fma_f64 v[208:209], v[52:53], s[26:27], -v[204:205]
	v_mul_f64 v[90:91], v[90:91], s[46:47]
	v_accvgpr_read_b32 v0, a112
	v_accvgpr_read_b32 v2, a114
	v_add_f64 v[166:167], v[214:215], v[166:167]
	v_add_f64 v[206:207], v[208:209], v[206:207]
	v_fma_f64 v[208:209], s[26:27], v[88:89], v[90:91]
	v_accvgpr_read_b32 v1, a113
	v_accvgpr_read_b32 v3, a115
	v_add_f64 v[214:215], v[58:59], -v[102:103]
	v_add_f64 v[208:209], v[208:209], v[228:229]
	v_fmac_f64_e32 v[204:205], s[26:27], v[52:53]
	v_fma_f64 v[88:89], v[88:89], s[26:27], -v[90:91]
	v_add_f64 v[90:91], v[0:1], v[2:3]
	v_add_f64 v[212:213], v[0:1], -v[2:3]
	v_mul_f64 v[228:229], v[214:215], s[50:51]
	v_add_f64 v[52:53], v[204:205], v[230:231]
	v_add_f64 v[88:89], v[88:89], v[240:241]
	;; [unrolled: 1-line block ×3, first 2 shown]
	v_fma_f64 v[230:231], v[90:91], s[16:17], -v[228:229]
	v_mul_f64 v[240:241], v[212:213], s[50:51]
	v_fmac_f64_e32 v[228:229], s[16:17], v[90:91]
	v_add_f64 v[32:33], v[228:229], v[32:33]
	v_fma_f64 v[228:229], v[204:205], s[16:17], -v[240:241]
	v_add_f64 v[34:35], v[228:229], v[34:35]
	v_mul_f64 v[228:229], v[214:215], s[22:23]
	v_add_f64 v[230:231], v[230:231], v[242:243]
	v_fma_f64 v[242:243], s[16:17], v[204:205], v[240:241]
	v_fma_f64 v[240:241], v[90:91], s[20:21], -v[228:229]
	v_add_f64 v[40:41], v[240:241], v[40:41]
	v_mul_f64 v[240:241], v[212:213], s[22:23]
	v_fmac_f64_e32 v[228:229], s[20:21], v[90:91]
	v_add_f64 v[48:49], v[228:229], v[48:49]
	v_fma_f64 v[228:229], v[204:205], s[20:21], -v[240:241]
	v_add_f64 v[50:51], v[228:229], v[50:51]
	v_mul_f64 v[228:229], v[214:215], s[58:59]
	v_add_f64 v[22:23], v[242:243], v[22:23]
	v_fma_f64 v[242:243], s[20:21], v[204:205], v[240:241]
	v_fma_f64 v[240:241], v[90:91], s[38:39], -v[228:229]
	v_add_f64 v[56:57], v[240:241], v[56:57]
	;; [unrolled: 10-line block ×6, first 2 shown]
	v_mul_f64 v[240:241], v[212:213], s[44:45]
	v_fmac_f64_e32 v[228:229], s[6:7], v[90:91]
	v_add_f64 v[188:189], v[228:229], v[188:189]
	v_fma_f64 v[228:229], v[204:205], s[6:7], -v[240:241]
	v_mul_f64 v[214:215], v[214:215], s[30:31]
	v_add_f64 v[190:191], v[228:229], v[190:191]
	v_fma_f64 v[228:229], v[90:91], s[28:29], -v[214:215]
	v_mul_f64 v[212:213], v[212:213], s[30:31]
	v_fmac_f64_e32 v[214:215], s[28:29], v[90:91]
	v_accvgpr_read_b32 v0, a84
	v_accvgpr_read_b32 v2, a86
	v_add_f64 v[206:207], v[228:229], v[206:207]
	v_fma_f64 v[228:229], s[28:29], v[204:205], v[212:213]
	v_add_f64 v[52:53], v[214:215], v[52:53]
	v_fma_f64 v[90:91], v[204:205], s[28:29], -v[212:213]
	v_accvgpr_read_b32 v1, a85
	v_accvgpr_read_b32 v3, a87
	v_add_f64 v[214:215], v[60:61], -v[100:101]
	v_add_f64 v[208:209], v[228:229], v[208:209]
	v_add_f64 v[88:89], v[90:91], v[88:89]
	;; [unrolled: 1-line block ×3, first 2 shown]
	v_mul_f64 v[228:229], v[214:215], s[44:45]
	v_add_f64 v[126:127], v[242:243], v[126:127]
	v_fma_f64 v[242:243], s[6:7], v[204:205], v[240:241]
	v_add_f64 v[212:213], v[0:1], -v[2:3]
	v_fma_f64 v[240:241], v[90:91], s[6:7], -v[228:229]
	v_add_f64 v[204:205], v[60:61], v[100:101]
	v_add_f64 v[230:231], v[240:241], v[230:231]
	v_mul_f64 v[240:241], v[212:213], s[44:45]
	v_fmac_f64_e32 v[228:229], s[6:7], v[90:91]
	v_add_f64 v[32:33], v[228:229], v[32:33]
	v_fma_f64 v[228:229], v[204:205], s[6:7], -v[240:241]
	v_add_f64 v[34:35], v[228:229], v[34:35]
	v_mul_f64 v[228:229], v[214:215], s[40:41]
	v_add_f64 v[166:167], v[242:243], v[166:167]
	v_fma_f64 v[242:243], s[6:7], v[204:205], v[240:241]
	v_fma_f64 v[240:241], v[90:91], s[38:39], -v[228:229]
	v_add_f64 v[40:41], v[240:241], v[40:41]
	v_mul_f64 v[240:241], v[212:213], s[40:41]
	v_fmac_f64_e32 v[228:229], s[38:39], v[90:91]
	v_add_f64 v[48:49], v[228:229], v[48:49]
	v_fma_f64 v[228:229], v[204:205], s[38:39], -v[240:241]
	v_add_f64 v[50:51], v[228:229], v[50:51]
	v_mul_f64 v[228:229], v[214:215], s[52:53]
	v_add_f64 v[22:23], v[242:243], v[22:23]
	v_fma_f64 v[242:243], s[38:39], v[204:205], v[240:241]
	v_fma_f64 v[240:241], v[90:91], s[12:13], -v[228:229]
	;; [unrolled: 10-line block ×6, first 2 shown]
	v_add_f64 v[164:165], v[240:241], v[164:165]
	v_mul_f64 v[240:241], v[212:213], s[56:57]
	v_fmac_f64_e32 v[228:229], s[20:21], v[90:91]
	v_add_f64 v[188:189], v[228:229], v[188:189]
	v_fma_f64 v[228:229], v[204:205], s[20:21], -v[240:241]
	v_mul_f64 v[214:215], v[214:215], s[42:43]
	v_add_f64 v[190:191], v[228:229], v[190:191]
	v_fma_f64 v[228:229], v[90:91], s[18:19], -v[214:215]
	v_mul_f64 v[212:213], v[212:213], s[42:43]
	v_fmac_f64_e32 v[214:215], s[18:19], v[90:91]
	v_accvgpr_read_b32 v0, a64
	v_accvgpr_read_b32 v2, a66
	v_add_f64 v[206:207], v[228:229], v[206:207]
	v_fma_f64 v[228:229], s[18:19], v[204:205], v[212:213]
	v_add_f64 v[52:53], v[214:215], v[52:53]
	v_fma_f64 v[90:91], v[204:205], s[18:19], -v[212:213]
	v_accvgpr_read_b32 v1, a65
	v_accvgpr_read_b32 v3, a67
	v_add_f64 v[214:215], v[64:65], -v[30:31]
	v_add_f64 v[208:209], v[228:229], v[208:209]
	v_add_f64 v[88:89], v[90:91], v[88:89]
	;; [unrolled: 1-line block ×3, first 2 shown]
	v_mul_f64 v[228:229], v[214:215], s[14:15]
	v_add_f64 v[126:127], v[242:243], v[126:127]
	v_fma_f64 v[242:243], s[20:21], v[204:205], v[240:241]
	v_add_f64 v[212:213], v[0:1], -v[2:3]
	v_fma_f64 v[240:241], v[90:91], s[12:13], -v[228:229]
	v_add_f64 v[204:205], v[64:65], v[30:31]
	v_add_f64 v[230:231], v[240:241], v[230:231]
	v_mul_f64 v[240:241], v[212:213], s[14:15]
	v_fmac_f64_e32 v[228:229], s[12:13], v[90:91]
	v_add_f64 v[32:33], v[228:229], v[32:33]
	v_fma_f64 v[228:229], v[204:205], s[12:13], -v[240:241]
	v_add_f64 v[34:35], v[228:229], v[34:35]
	v_mul_f64 v[228:229], v[214:215], s[54:55]
	v_add_f64 v[166:167], v[242:243], v[166:167]
	v_fma_f64 v[242:243], s[12:13], v[204:205], v[240:241]
	v_fma_f64 v[240:241], v[90:91], s[28:29], -v[228:229]
	v_add_f64 v[40:41], v[240:241], v[40:41]
	v_mul_f64 v[240:241], v[212:213], s[54:55]
	v_fmac_f64_e32 v[228:229], s[28:29], v[90:91]
	v_add_f64 v[48:49], v[228:229], v[48:49]
	v_fma_f64 v[228:229], v[204:205], s[28:29], -v[240:241]
	v_add_f64 v[50:51], v[228:229], v[50:51]
	v_mul_f64 v[228:229], v[214:215], s[42:43]
	v_add_f64 v[22:23], v[242:243], v[22:23]
	v_fma_f64 v[242:243], s[28:29], v[204:205], v[240:241]
	v_fma_f64 v[240:241], v[90:91], s[18:19], -v[228:229]
	;; [unrolled: 10-line block ×6, first 2 shown]
	v_add_f64 v[164:165], v[240:241], v[164:165]
	v_mul_f64 v[240:241], v[212:213], s[36:37]
	v_fmac_f64_e32 v[228:229], s[26:27], v[90:91]
	v_add_f64 v[188:189], v[228:229], v[188:189]
	v_fma_f64 v[228:229], v[204:205], s[26:27], -v[240:241]
	v_mul_f64 v[214:215], v[214:215], s[22:23]
	v_add_f64 v[190:191], v[228:229], v[190:191]
	v_fma_f64 v[228:229], v[90:91], s[20:21], -v[214:215]
	v_mul_f64 v[212:213], v[212:213], s[22:23]
	v_fmac_f64_e32 v[214:215], s[20:21], v[90:91]
	v_accvgpr_read_b32 v0, a52
	v_accvgpr_read_b32 v2, a54
	v_add_f64 v[206:207], v[228:229], v[206:207]
	v_fma_f64 v[228:229], s[20:21], v[204:205], v[212:213]
	v_add_f64 v[52:53], v[214:215], v[52:53]
	v_fma_f64 v[90:91], v[204:205], s[20:21], -v[212:213]
	v_accvgpr_read_b32 v1, a53
	v_accvgpr_read_b32 v3, a55
	v_add_f64 v[214:215], v[66:67], -v[28:29]
	v_add_f64 v[208:209], v[228:229], v[208:209]
	v_add_f64 v[88:89], v[90:91], v[88:89]
	;; [unrolled: 1-line block ×3, first 2 shown]
	v_mul_f64 v[228:229], v[214:215], s[22:23]
	v_add_f64 v[126:127], v[242:243], v[126:127]
	v_fma_f64 v[242:243], s[26:27], v[204:205], v[240:241]
	v_add_f64 v[212:213], v[0:1], -v[2:3]
	v_fma_f64 v[240:241], v[90:91], s[20:21], -v[228:229]
	v_add_f64 v[204:205], v[66:67], v[28:29]
	v_add_f64 v[230:231], v[240:241], v[230:231]
	v_mul_f64 v[240:241], v[212:213], s[22:23]
	v_fmac_f64_e32 v[228:229], s[20:21], v[90:91]
	v_add_f64 v[32:33], v[228:229], v[32:33]
	v_fma_f64 v[228:229], v[204:205], s[20:21], -v[240:241]
	v_add_f64 v[34:35], v[228:229], v[34:35]
	v_mul_f64 v[228:229], v[214:215], s[52:53]
	v_add_f64 v[166:167], v[242:243], v[166:167]
	v_fma_f64 v[242:243], s[20:21], v[204:205], v[240:241]
	v_fma_f64 v[240:241], v[90:91], s[12:13], -v[228:229]
	v_add_f64 v[240:241], v[240:241], v[40:41]
	v_mul_f64 v[40:41], v[212:213], s[52:53]
	v_add_f64 v[22:23], v[242:243], v[22:23]
	v_fma_f64 v[242:243], s[12:13], v[204:205], v[40:41]
	v_fma_f64 v[40:41], v[204:205], s[12:13], -v[40:41]
	v_add_f64 v[50:51], v[40:41], v[50:51]
	v_mul_f64 v[40:41], v[214:215], s[36:37]
	v_add_f64 v[242:243], v[242:243], v[46:47]
	v_fmac_f64_e32 v[228:229], s[12:13], v[90:91]
	v_fma_f64 v[46:47], v[90:91], s[26:27], -v[40:41]
	v_add_f64 v[48:49], v[228:229], v[48:49]
	v_add_f64 v[228:229], v[46:47], v[56:57]
	v_mul_f64 v[46:47], v[212:213], s[36:37]
	v_fmac_f64_e32 v[40:41], s[26:27], v[90:91]
	v_add_f64 v[68:69], v[40:41], v[68:69]
	v_fma_f64 v[40:41], v[204:205], s[26:27], -v[46:47]
	v_add_f64 v[80:81], v[40:41], v[80:81]
	v_mul_f64 v[40:41], v[214:215], s[30:31]
	v_fma_f64 v[56:57], s[26:27], v[204:205], v[46:47]
	v_fma_f64 v[46:47], v[90:91], s[28:29], -v[40:41]
	v_add_f64 v[82:83], v[46:47], v[82:83]
	v_mul_f64 v[46:47], v[212:213], s[30:31]
	v_fmac_f64_e32 v[40:41], s[28:29], v[90:91]
	v_add_f64 v[108:109], v[40:41], v[108:109]
	v_fma_f64 v[40:41], v[204:205], s[28:29], -v[46:47]
	v_add_f64 v[110:111], v[40:41], v[110:111]
	v_mul_f64 v[40:41], v[214:215], s[34:35]
	v_add_f64 v[244:245], v[56:57], v[62:63]
	v_fma_f64 v[56:57], s[28:29], v[204:205], v[46:47]
	v_fma_f64 v[46:47], v[90:91], s[6:7], -v[40:41]
	v_add_f64 v[112:113], v[46:47], v[112:113]
	v_mul_f64 v[46:47], v[212:213], s[34:35]
	v_fmac_f64_e32 v[40:41], s[6:7], v[90:91]
	v_add_f64 v[116:117], v[40:41], v[116:117]
	v_fma_f64 v[40:41], v[204:205], s[6:7], -v[46:47]
	v_add_f64 v[118:119], v[40:41], v[118:119]
	v_mul_f64 v[40:41], v[214:215], s[48:49]
	v_add_f64 v[106:107], v[56:57], v[106:107]
	v_fma_f64 v[56:57], s[6:7], v[204:205], v[46:47]
	v_fma_f64 v[46:47], v[90:91], s[18:19], -v[40:41]
	v_add_f64 v[124:125], v[46:47], v[124:125]
	v_mul_f64 v[46:47], v[212:213], s[48:49]
	v_fmac_f64_e32 v[40:41], s[18:19], v[90:91]
	v_add_f64 v[156:157], v[40:41], v[156:157]
	v_fma_f64 v[40:41], v[204:205], s[18:19], -v[46:47]
	v_add_f64 v[158:159], v[40:41], v[158:159]
	v_mul_f64 v[40:41], v[214:215], s[40:41]
	v_add_f64 v[114:115], v[56:57], v[114:115]
	v_fma_f64 v[56:57], s[18:19], v[204:205], v[46:47]
	v_fma_f64 v[46:47], v[90:91], s[38:39], -v[40:41]
	v_mul_f64 v[2:3], v[212:213], s[40:41]
	v_fmac_f64_e32 v[40:41], s[38:39], v[90:91]
	v_add_f64 v[0:1], v[46:47], v[164:165]
	v_fma_f64 v[46:47], s[38:39], v[204:205], v[2:3]
	v_add_f64 v[6:7], v[40:41], v[188:189]
	v_mul_f64 v[40:41], v[214:215], s[24:25]
	v_add_f64 v[4:5], v[46:47], v[166:167]
	v_fma_f64 v[46:47], v[90:91], s[16:17], -v[40:41]
	v_add_f64 v[214:215], v[46:47], v[206:207]
	v_mul_f64 v[46:47], v[212:213], s[24:25]
	v_fmac_f64_e32 v[40:41], s[16:17], v[90:91]
	v_accvgpr_read_b32 v8, a22
	v_accvgpr_read_b32 v10, a24
	v_add_f64 v[52:53], v[40:41], v[52:53]
	v_fma_f64 v[40:41], v[204:205], s[16:17], -v[46:47]
	v_accvgpr_read_b32 v9, a23
	v_accvgpr_read_b32 v11, a25
	v_add_f64 v[70:71], v[42:43], -v[74:75]
	v_add_f64 v[88:89], v[40:41], v[88:89]
	v_add_f64 v[90:91], v[8:9], v[10:11]
	v_mul_f64 v[40:41], v[70:71], s[30:31]
	v_add_f64 v[126:127], v[56:57], v[126:127]
	v_fma_f64 v[56:57], s[16:17], v[204:205], v[46:47]
	v_add_f64 v[212:213], v[8:9], -v[10:11]
	v_fma_f64 v[46:47], v[90:91], s[28:29], -v[40:41]
	v_fma_f64 v[2:3], v[204:205], s[38:39], -v[2:3]
	v_add_f64 v[204:205], v[42:43], v[74:75]
	v_add_f64 v[86:87], v[46:47], v[230:231]
	v_mul_f64 v[46:47], v[212:213], s[30:31]
	v_fma_f64 v[10:11], v[204:205], s[28:29], -v[46:47]
	v_add_f64 v[208:209], v[56:57], v[208:209]
	v_fma_f64 v[56:57], s[28:29], v[204:205], v[46:47]
	v_add_f64 v[46:47], v[10:11], v[34:35]
	v_mul_f64 v[10:11], v[70:71], s[24:25]
	v_add_f64 v[8:9], v[56:57], v[22:23]
	v_fmac_f64_e32 v[40:41], s[28:29], v[90:91]
	v_fma_f64 v[22:23], v[90:91], s[16:17], -v[10:11]
	v_add_f64 v[40:41], v[40:41], v[32:33]
	v_add_f64 v[32:33], v[22:23], v[240:241]
	v_mul_f64 v[22:23], v[212:213], s[24:25]
	v_fmac_f64_e32 v[10:11], s[16:17], v[90:91]
	v_add_f64 v[56:57], v[10:11], v[48:49]
	v_fma_f64 v[10:11], v[204:205], s[16:17], -v[22:23]
	v_add_f64 v[62:63], v[10:11], v[50:51]
	v_mul_f64 v[10:11], v[70:71], s[44:45]
	v_fma_f64 v[34:35], s[16:17], v[204:205], v[22:23]
	v_fma_f64 v[22:23], v[90:91], s[6:7], -v[10:11]
	v_add_f64 v[48:49], v[22:23], v[228:229]
	v_mul_f64 v[22:23], v[212:213], s[44:45]
	v_fmac_f64_e32 v[10:11], s[6:7], v[90:91]
	v_add_f64 v[246:247], v[10:11], v[68:69]
	v_fma_f64 v[10:11], v[204:205], s[6:7], -v[22:23]
	v_add_f64 v[68:69], v[10:11], v[80:81]
	v_mul_f64 v[10:11], v[70:71], s[56:57]
	v_fma_f64 v[50:51], s[6:7], v[204:205], v[22:23]
	v_fma_f64 v[22:23], v[90:91], s[20:21], -v[10:11]
	v_add_f64 v[34:35], v[34:35], v[242:243]
	v_add_f64 v[242:243], v[22:23], v[82:83]
	v_mul_f64 v[22:23], v[212:213], s[56:57]
	v_fmac_f64_e32 v[10:11], s[20:21], v[90:91]
	v_add_f64 v[230:231], v[10:11], v[108:109]
	v_fma_f64 v[10:11], v[204:205], s[20:21], -v[22:23]
	v_add_f64 v[240:241], v[10:11], v[110:111]
	v_mul_f64 v[10:11], v[70:71], s[36:37]
	v_fma_f64 v[80:81], s[20:21], v[204:205], v[22:23]
	v_fma_f64 v[22:23], v[90:91], s[26:27], -v[10:11]
	v_add_f64 v[206:207], v[22:23], v[112:113]
	v_mul_f64 v[22:23], v[212:213], s[36:37]
	v_fmac_f64_e32 v[10:11], s[26:27], v[90:91]
	v_add_f64 v[188:189], v[10:11], v[116:117]
	v_fma_f64 v[10:11], v[204:205], s[26:27], -v[22:23]
	v_add_f64 v[2:3], v[2:3], v[190:191]
	v_add_f64 v[190:191], v[10:11], v[118:119]
	v_mul_f64 v[10:11], v[70:71], s[40:41]
	v_add_f64 v[50:51], v[50:51], v[244:245]
	v_add_f64 v[244:245], v[80:81], v[106:107]
	v_fma_f64 v[80:81], s[26:27], v[204:205], v[22:23]
	v_fma_f64 v[22:23], v[90:91], s[38:39], -v[10:11]
	v_add_f64 v[164:165], v[22:23], v[124:125]
	v_mul_f64 v[22:23], v[212:213], s[40:41]
	v_fmac_f64_e32 v[10:11], s[38:39], v[90:91]
	v_add_f64 v[156:157], v[10:11], v[156:157]
	v_fma_f64 v[10:11], v[204:205], s[38:39], -v[22:23]
	v_add_f64 v[158:159], v[10:11], v[158:159]
	v_mul_f64 v[10:11], v[70:71], s[42:43]
	v_add_f64 v[228:229], v[80:81], v[114:115]
	v_fma_f64 v[80:81], s[38:39], v[204:205], v[22:23]
	v_fma_f64 v[22:23], v[90:91], s[18:19], -v[10:11]
	v_add_f64 v[116:117], v[22:23], v[0:1]
	v_mul_f64 v[0:1], v[212:213], s[42:43]
	v_fma_f64 v[22:23], s[18:19], v[204:205], v[0:1]
	v_fma_f64 v[0:1], v[204:205], s[18:19], -v[0:1]
	v_add_f64 v[110:111], v[0:1], v[2:3]
	v_mul_f64 v[0:1], v[70:71], s[14:15]
	v_fmac_f64_e32 v[10:11], s[18:19], v[90:91]
	v_fma_f64 v[2:3], v[90:91], s[12:13], -v[0:1]
	v_fmac_f64_e32 v[0:1], s[12:13], v[90:91]
	v_add_f64 v[166:167], v[80:81], v[126:127]
	v_add_f64 v[108:109], v[10:11], v[6:7]
	v_accvgpr_read_b32 v11, a9
	v_add_f64 v[82:83], v[2:3], v[214:215]
	v_mul_f64 v[2:3], v[212:213], s[14:15]
	v_add_f64 v[80:81], v[0:1], v[52:53]
	v_accvgpr_read_b32 v53, a11
	v_accvgpr_read_b32 v10, a8
	v_accvgpr_read_b32 v52, a10
	v_fma_f64 v[0:1], v[204:205], s[12:13], -v[2:3]
	v_add_f64 v[126:127], v[44:45], -v[54:55]
	v_add_f64 v[118:119], v[22:23], v[4:5]
	v_add_f64 v[22:23], v[0:1], v[88:89]
	;; [unrolled: 1-line block ×3, first 2 shown]
	v_mul_f64 v[0:1], v[126:127], s[40:41]
	v_fma_f64 v[4:5], s[12:13], v[204:205], v[2:3]
	v_add_f64 v[124:125], v[10:11], -v[52:53]
	v_fma_f64 v[2:3], v[114:115], s[38:39], -v[0:1]
	v_add_f64 v[112:113], v[44:45], v[54:55]
	v_add_f64 v[212:213], v[2:3], v[86:87]
	v_mul_f64 v[2:3], v[124:125], s[40:41]
	v_fmac_f64_e32 v[0:1], s[38:39], v[114:115]
	v_add_f64 v[86:87], v[0:1], v[40:41]
	v_fma_f64 v[0:1], v[112:113], s[38:39], -v[2:3]
	v_add_f64 v[88:89], v[0:1], v[46:47]
	v_mul_f64 v[0:1], v[126:127], s[46:47]
	v_add_f64 v[106:107], v[4:5], v[208:209]
	v_fma_f64 v[4:5], s[38:39], v[112:113], v[2:3]
	v_fma_f64 v[2:3], v[114:115], s[26:27], -v[0:1]
	v_add_f64 v[6:7], v[2:3], v[32:33]
	v_mul_f64 v[2:3], v[124:125], s[46:47]
	v_fmac_f64_e32 v[0:1], s[26:27], v[114:115]
	v_add_f64 v[214:215], v[4:5], v[8:9]
	v_fma_f64 v[4:5], s[26:27], v[112:113], v[2:3]
	v_add_f64 v[32:33], v[0:1], v[56:57]
	v_fma_f64 v[0:1], v[112:113], s[26:27], -v[2:3]
	v_add_f64 v[8:9], v[4:5], v[34:35]
	v_add_f64 v[34:35], v[0:1], v[62:63]
	v_mul_f64 v[0:1], v[126:127], s[30:31]
	v_accvgpr_write_b32 a87, v35
	v_fma_f64 v[2:3], v[114:115], s[28:29], -v[0:1]
	v_accvgpr_write_b32 a86, v34
	v_accvgpr_write_b32 a85, v33
	;; [unrolled: 1-line block ×3, first 2 shown]
	v_add_f64 v[32:33], v[2:3], v[48:49]
	v_mul_f64 v[2:3], v[124:125], s[30:31]
	v_fma_f64 v[4:5], s[28:29], v[112:113], v[2:3]
	v_add_f64 v[34:35], v[4:5], v[50:51]
	v_accvgpr_write_b32 a55, v35
	v_fmac_f64_e32 v[0:1], s[28:29], v[114:115]
	v_accvgpr_write_b32 a54, v34
	v_accvgpr_write_b32 a53, v33
	;; [unrolled: 1-line block ×3, first 2 shown]
	v_add_f64 v[32:33], v[0:1], v[246:247]
	v_fma_f64 v[0:1], v[112:113], s[28:29], -v[2:3]
	v_add_f64 v[34:35], v[0:1], v[68:69]
	v_mul_f64 v[0:1], v[126:127], s[42:43]
	v_accvgpr_write_b32 a8, v32
	v_fma_f64 v[2:3], v[114:115], s[18:19], -v[0:1]
	v_accvgpr_write_b32 a9, v33
	v_accvgpr_write_b32 a10, v34
	;; [unrolled: 1-line block ×3, first 2 shown]
	v_add_f64 v[32:33], v[2:3], v[242:243]
	v_mul_f64 v[2:3], v[124:125], s[42:43]
	v_fma_f64 v[4:5], s[18:19], v[112:113], v[2:3]
	v_add_f64 v[34:35], v[4:5], v[244:245]
	v_accvgpr_write_b32 a67, v35
	v_fmac_f64_e32 v[0:1], s[18:19], v[114:115]
	v_accvgpr_write_b32 a66, v34
	v_accvgpr_write_b32 a65, v33
	;; [unrolled: 1-line block ×3, first 2 shown]
	v_add_f64 v[32:33], v[0:1], v[230:231]
	v_fma_f64 v[0:1], v[112:113], s[18:19], -v[2:3]
	v_add_f64 v[34:35], v[0:1], v[240:241]
	v_mul_f64 v[0:1], v[126:127], s[22:23]
	v_accvgpr_write_b32 a127, v35
	v_fma_f64 v[2:3], v[114:115], s[20:21], -v[0:1]
	v_accvgpr_write_b32 a126, v34
	v_accvgpr_write_b32 a125, v33
	;; [unrolled: 1-line block ×3, first 2 shown]
	v_add_f64 v[32:33], v[2:3], v[206:207]
	v_mul_f64 v[2:3], v[124:125], s[22:23]
	v_fma_f64 v[4:5], s[20:21], v[112:113], v[2:3]
	v_accvgpr_mov_b32 a123, a113
	v_add_f64 v[34:35], v[4:5], v[228:229]
	v_accvgpr_mov_b32 a122, a112
	v_accvgpr_write_b32 a115, v35
	v_fmac_f64_e32 v[0:1], s[20:21], v[114:115]
	v_accvgpr_write_b32 a114, v34
	v_accvgpr_write_b32 a113, v33
	v_accvgpr_write_b32 a112, v32
	v_add_f64 v[32:33], v[0:1], v[188:189]
	v_fma_f64 v[0:1], v[112:113], s[20:21], -v[2:3]
	v_add_f64 v[34:35], v[0:1], v[190:191]
	v_mul_f64 v[0:1], v[126:127], s[24:25]
	v_accvgpr_write_b32 a22, v32
	v_fma_f64 v[2:3], v[114:115], s[16:17], -v[0:1]
	v_accvgpr_write_b32 a23, v33
	v_accvgpr_write_b32 a24, v34
	v_accvgpr_write_b32 a25, v35
	v_add_f64 v[32:33], v[2:3], v[164:165]
	v_mul_f64 v[2:3], v[124:125], s[24:25]
	v_fma_f64 v[4:5], s[16:17], v[112:113], v[2:3]
	v_add_f64 v[34:35], v[4:5], v[166:167]
	v_accvgpr_write_b32 a159, v35
	v_fmac_f64_e32 v[0:1], s[16:17], v[114:115]
	v_accvgpr_write_b32 a158, v34
	v_accvgpr_write_b32 a157, v33
	v_accvgpr_write_b32 a156, v32
	v_add_f64 v[32:33], v[0:1], v[156:157]
	v_fma_f64 v[0:1], v[112:113], s[16:17], -v[2:3]
	v_add_f64 v[34:35], v[0:1], v[158:159]
	v_mul_f64 v[0:1], v[126:127], s[14:15]
	v_accvgpr_write_b32 a187, v35
	v_fma_f64 v[2:3], v[114:115], s[12:13], -v[0:1]
	v_accvgpr_write_b32 a186, v34
	v_accvgpr_write_b32 a185, v33
	v_accvgpr_write_b32 a184, v32
	v_add_f64 v[32:33], v[2:3], v[116:117]
	v_mul_f64 v[2:3], v[124:125], s[14:15]
	v_fma_f64 v[4:5], s[12:13], v[112:113], v[2:3]
	v_add_f64 v[34:35], v[4:5], v[118:119]
	;; [unrolled: 18-line block ×3, first 2 shown]
	v_accvgpr_write_b32 a229, v35
	v_fmac_f64_e32 v[0:1], s[6:7], v[114:115]
	v_accvgpr_write_b32 a228, v34
	v_accvgpr_write_b32 a227, v33
	;; [unrolled: 1-line block ×3, first 2 shown]
	v_add_f64 v[32:33], v[0:1], v[80:81]
	v_fma_f64 v[0:1], v[112:113], s[6:7], -v[2:3]
	v_add_f64 v[34:35], v[0:1], v[22:23]
	v_accvgpr_read_b32 v0, a12
	v_mul_u32_u24_e32 v0, 0x77, v0
	v_accvgpr_read_b32 v1, a13
	v_add_u32_sdwa v0, v0, v1 dst_sel:DWORD dst_unused:UNUSED_PAD src0_sel:DWORD src1_sel:BYTE_0
	v_lshl_add_u32 v208, v0, 4, v211
	v_accvgpr_read_b32 v0, a14
	v_mul_u32_u24_e32 v0, 0x77, v0
	v_accvgpr_read_b32 v1, a15
	v_add_u32_sdwa v0, v0, v1 dst_sel:DWORD dst_unused:UNUSED_PAD src0_sel:DWORD src1_sel:BYTE_0
	v_lshl_add_u32 v209, v0, 4, v211
	v_accvgpr_write_b32 a241, v35
	ds_write_b128 v208, a[152:155]
	ds_write_b128 v208, a[166:169] offset:112
	ds_write_b128 v208, v[128:131] offset:224
	;; [unrolled: 1-line block ×8, first 2 shown]
	v_pk_mov_b32 v[182:183], v[8:9], v[8:9] op_sel:[0,1]
	ds_write_b128 v208, v[184:187] offset:1008
	ds_write_b128 v208, v[176:179] offset:1120
	;; [unrolled: 1-line block ×8, first 2 shown]
	ds_write_b128 v209, v[192:195]
	v_pk_mov_b32 v[194:195], v[88:89], v[88:89] op_sel:[0,1]
	v_accvgpr_write_b32 a240, v34
	v_accvgpr_write_b32 a239, v33
	;; [unrolled: 1-line block ×3, first 2 shown]
	v_pk_mov_b32 v[180:181], v[6:7], v[6:7] op_sel:[0,1]
	v_pk_mov_b32 v[192:193], v[86:87], v[86:87] op_sel:[0,1]
	ds_write_b128 v209, v[200:203] offset:112
	ds_write_b128 v209, v[96:99] offset:224
	;; [unrolled: 1-line block ×16, first 2 shown]
	s_and_saveexec_b64 s[6:7], vcc
	s_cbranch_execz .LBB0_5
; %bb.4:
	v_add_f64 v[0:1], v[78:79], v[84:85]
	v_add_f64 v[0:1], v[0:1], v[72:73]
	;; [unrolled: 1-line block ×16, first 2 shown]
	v_accvgpr_read_b32 v0, a118
	v_accvgpr_read_b32 v1, a119
	;; [unrolled: 1-line block ×3, first 2 shown]
	v_add_f64 v[0:1], v[76:77], v[0:1]
	v_accvgpr_read_b32 v5, a121
	v_add_f64 v[0:1], v[0:1], v[4:5]
	v_accvgpr_read_b32 v4, a122
	v_accvgpr_read_b32 v5, a123
	v_add_f64 v[0:1], v[0:1], v[4:5]
	v_accvgpr_read_b32 v4, a128
	;; [unrolled: 3-line block ×5, first 2 shown]
	v_accvgpr_read_b32 v5, a135
	v_add_f64 v[0:1], v[0:1], v[4:5]
	v_add_f64 v[0:1], v[0:1], v[10:11]
	v_accvgpr_read_b32 v4, a136
	v_add_f64 v[0:1], v[0:1], v[52:53]
	v_accvgpr_read_b32 v5, a137
	;; [unrolled: 2-line block ×3, first 2 shown]
	v_accvgpr_read_b32 v5, a139
	v_add_f64 v[0:1], v[0:1], v[4:5]
	v_accvgpr_read_b32 v4, a142
	v_accvgpr_read_b32 v5, a143
	v_add_f64 v[0:1], v[0:1], v[4:5]
	v_accvgpr_read_b32 v4, a144
	;; [unrolled: 3-line block ×5, first 2 shown]
	v_accvgpr_read_b32 v5, a151
	v_add_f64 v[0:1], v[0:1], v[4:5]
	buffer_load_dword v4, off, s[60:63], 0 offset:340 ; 4-byte Folded Reload
	s_waitcnt vmcnt(0)
	v_and_b32_e32 v4, 0xff, v4
	v_lshl_add_u32 v4, v4, 4, v211
	ds_write_b128 v4, v[0:3] offset:7616
	ds_write_b128 v4, v[212:215] offset:7728
	;; [unrolled: 1-line block ×17, first 2 shown]
.LBB0_5:
	s_or_b64 exec, exec, s[6:7]
	v_accvgpr_read_b32 v218, a20
	v_lshlrev_b32_e32 v160, 6, v218
	s_waitcnt lgkmcnt(0)
	; wave barrier
	s_waitcnt lgkmcnt(0)
	ds_read_b128 v[16:19], v210
	ds_read_b128 v[140:143], v210 offset:1904
	ds_read_b128 v[136:139], v210 offset:3808
	;; [unrolled: 1-line block ×34, first 2 shown]
	global_load_dwordx4 v[196:199], v160, s[2:3] offset:1840
	global_load_dwordx4 v[200:203], v160, s[2:3] offset:1824
	;; [unrolled: 1-line block ×4, first 2 shown]
	s_add_u32 s6, s0, 0x2530
	s_addc_u32 s7, s1, 0
	s_mov_b32 s0, 0x4755a5e
	s_mov_b32 s15, 0xbfee6f0e
	;; [unrolled: 1-line block ×14, first 2 shown]
	s_waitcnt vmcnt(3) lgkmcnt(14)
	v_mul_f64 v[166:167], v[128:129], v[198:199]
	s_waitcnt vmcnt(2)
	v_mul_f64 v[164:165], v[132:133], v[202:203]
	v_fmac_f64_e32 v[164:165], v[134:135], v[200:201]
	s_waitcnt vmcnt(0)
	v_mul_f64 v[88:89], v[142:143], v[96:97]
	v_fma_f64 v[206:207], v[140:141], v[94:95], -v[88:89]
	v_mul_f64 v[88:89], v[138:139], v[92:93]
	v_fma_f64 v[244:245], v[136:137], v[90:91], -v[88:89]
	;; [unrolled: 2-line block ×4, first 2 shown]
	v_accvgpr_read_b32 v88, a116
	v_accvgpr_write_b32 a131, v97
	v_lshlrev_b32_e32 v88, 6, v88
	v_mul_f64 v[156:157], v[140:141], v[96:97]
	v_accvgpr_write_b32 a130, v96
	v_accvgpr_write_b32 a129, v95
	;; [unrolled: 1-line block ×3, first 2 shown]
	v_fmac_f64_e32 v[166:167], v[130:131], v[196:197]
	global_load_dwordx4 v[120:123], v88, s[2:3] offset:1840
	global_load_dwordx4 v[128:131], v88, s[2:3] offset:1824
	;; [unrolled: 1-line block ×4, first 2 shown]
	v_mul_f64 v[158:159], v[136:137], v[92:93]
	v_accvgpr_write_b32 a12, v90
	v_accvgpr_write_b32 a13, v91
	;; [unrolled: 1-line block ×4, first 2 shown]
	v_fmac_f64_e32 v[158:159], v[138:139], v[90:91]
	v_fmac_f64_e32 v[156:157], v[142:143], v[94:95]
	s_waitcnt vmcnt(3)
	v_accvgpr_write_b32 a135, v123
	s_waitcnt vmcnt(2)
	v_accvgpr_write_b32 a116, v128
	s_waitcnt vmcnt(1)
	v_mul_f64 v[90:91], v[126:127], v[98:99]
	v_fma_f64 v[94:95], v[124:125], v[96:97], -v[90:91]
	v_mul_f64 v[90:91], v[124:125], v[98:99]
	v_accvgpr_write_b32 a139, v99
	v_accvgpr_write_b32 a138, v98
	;; [unrolled: 1-line block ×4, first 2 shown]
	v_fmac_f64_e32 v[90:91], v[126:127], v[96:97]
	v_mul_f64 v[96:97], v[118:119], v[130:131]
	v_fma_f64 v[124:125], v[116:117], v[128:129], -v[96:97]
	v_mul_f64 v[116:117], v[116:117], v[130:131]
	v_mul_f64 v[96:97], v[114:115], v[122:123]
	s_waitcnt vmcnt(0)
	v_mul_f64 v[88:89], v[146:147], v[134:135]
	v_fmac_f64_e32 v[116:117], v[118:119], v[128:129]
	v_fma_f64 v[118:119], v[112:113], v[120:121], -v[96:97]
	v_accvgpr_read_b32 v96, a140
	v_fma_f64 v[92:93], v[144:145], v[132:133], -v[88:89]
	v_mul_f64 v[88:89], v[144:145], v[134:135]
	v_accvgpr_write_b32 a120, v132
	v_mul_f64 v[112:113], v[112:113], v[122:123]
	v_lshlrev_b32_e32 v96, 6, v96
	v_accvgpr_write_b32 a121, v133
	v_accvgpr_write_b32 a122, v134
	;; [unrolled: 1-line block ×3, first 2 shown]
	v_fmac_f64_e32 v[88:89], v[146:147], v[132:133]
	v_accvgpr_write_b32 a117, v129
	v_accvgpr_write_b32 a118, v130
	;; [unrolled: 1-line block ×6, first 2 shown]
	v_fmac_f64_e32 v[112:113], v[114:115], v[120:121]
	global_load_dwordx4 v[120:123], v96, s[2:3] offset:1840
	global_load_dwordx4 v[126:129], v96, s[2:3] offset:1824
	;; [unrolled: 1-line block ×4, first 2 shown]
	s_waitcnt vmcnt(3)
	v_accvgpr_write_b32 a143, v123
	s_waitcnt vmcnt(2)
	v_accvgpr_write_b32 a151, v129
	;; [unrolled: 2-line block ×3, first 2 shown]
	s_waitcnt vmcnt(0)
	v_mul_f64 v[96:97], v[110:111], v[136:137]
	v_fma_f64 v[114:115], v[108:109], v[134:135], -v[96:97]
	v_mul_f64 v[108:109], v[108:109], v[136:137]
	v_mul_f64 v[96:97], v[106:107], v[132:133]
	v_fmac_f64_e32 v[108:109], v[110:111], v[134:135]
	v_fma_f64 v[110:111], v[104:105], v[130:131], -v[96:97]
	v_mul_f64 v[104:105], v[104:105], v[132:133]
	v_mul_f64 v[96:97], v[102:103], v[128:129]
	v_fmac_f64_e32 v[104:105], v[106:107], v[130:131]
	;; [unrolled: 4-line block ×3, first 2 shown]
	v_fma_f64 v[102:103], v[84:85], v[120:121], -v[96:97]
	v_mul_f64 v[84:85], v[84:85], v[122:123]
	v_fmac_f64_e32 v[84:85], v[86:87], v[120:121]
	v_accvgpr_read_b32 v86, a160
	v_accvgpr_write_b32 a155, v137
	v_lshlrev_b32_e32 v86, 6, v86
	v_accvgpr_write_b32 a154, v136
	v_accvgpr_write_b32 a153, v135
	;; [unrolled: 1-line block ×12, first 2 shown]
	global_load_dwordx4 v[128:131], v86, s[2:3] offset:1840
	global_load_dwordx4 v[132:135], v86, s[2:3] offset:1824
	global_load_dwordx4 v[120:123], v86, s[2:3] offset:1808
	global_load_dwordx4 v[96:99], v86, s[2:3] offset:1792
	s_waitcnt vmcnt(3)
	v_accvgpr_write_b32 a167, v131
	s_waitcnt vmcnt(2)
	v_accvgpr_write_b32 a163, v135
	;; [unrolled: 2-line block ×3, first 2 shown]
	s_waitcnt vmcnt(0)
	v_mul_f64 v[86:87], v[82:83], v[98:99]
	v_fma_f64 v[86:87], v[80:81], v[96:97], -v[86:87]
	v_mul_f64 v[126:127], v[80:81], v[98:99]
	v_accvgpr_write_b32 a175, v99
	v_mul_f64 v[80:81], v[78:79], v[122:123]
	v_accvgpr_write_b32 a174, v98
	v_accvgpr_write_b32 a173, v97
	;; [unrolled: 1-line block ×3, first 2 shown]
	v_fmac_f64_e32 v[126:127], v[82:83], v[96:97]
	v_fma_f64 v[98:99], v[76:77], v[120:121], -v[80:81]
	v_mul_f64 v[96:97], v[76:77], v[122:123]
	v_mul_f64 v[76:77], v[74:75], v[134:135]
	v_accvgpr_write_b32 a170, v122
	v_accvgpr_write_b32 a169, v121
	;; [unrolled: 1-line block ×3, first 2 shown]
	v_fmac_f64_e32 v[96:97], v[78:79], v[120:121]
	v_fma_f64 v[120:121], v[72:73], v[132:133], -v[76:77]
	v_mul_f64 v[72:73], v[72:73], v[134:135]
	v_fmac_f64_e32 v[72:73], v[74:75], v[132:133]
	v_mul_f64 v[74:75], v[70:71], v[130:131]
	v_fma_f64 v[74:75], v[68:69], v[128:129], -v[74:75]
	v_mul_f64 v[68:69], v[68:69], v[130:131]
	v_fmac_f64_e32 v[68:69], v[70:71], v[128:129]
	v_accvgpr_read_b32 v70, a213
	v_lshlrev_b32_e32 v70, 6, v70
	v_accvgpr_write_b32 a162, v134
	v_accvgpr_write_b32 a161, v133
	;; [unrolled: 1-line block ×6, first 2 shown]
	global_load_dwordx4 v[76:79], v70, s[2:3] offset:1840
	global_load_dwordx4 v[80:83], v70, s[2:3] offset:1824
	;; [unrolled: 1-line block ×4, first 2 shown]
	s_waitcnt vmcnt(3)
	v_accvgpr_write_b32 a179, v79
	v_accvgpr_write_b32 a178, v78
	s_waitcnt vmcnt(1) lgkmcnt(12)
	v_mul_f64 v[128:129], v[60:61], v[132:133]
	s_waitcnt vmcnt(0)
	v_mul_f64 v[70:71], v[66:67], v[138:139]
	v_fma_f64 v[134:135], v[64:65], v[136:137], -v[70:71]
	v_mul_f64 v[122:123], v[64:65], v[138:139]
	v_accvgpr_write_b32 a191, v139
	v_mul_f64 v[64:65], v[62:63], v[132:133]
	v_accvgpr_write_b32 a190, v138
	v_accvgpr_write_b32 a189, v137
	;; [unrolled: 1-line block ×3, first 2 shown]
	v_fmac_f64_e32 v[122:123], v[66:67], v[136:137]
	v_fma_f64 v[136:137], v[60:61], v[130:131], -v[64:65]
	v_accvgpr_write_b32 a195, v133
	s_waitcnt lgkmcnt(11)
	v_mul_f64 v[60:61], v[58:59], v[82:83]
	v_accvgpr_write_b32 a194, v132
	v_accvgpr_write_b32 a193, v131
	;; [unrolled: 1-line block ×3, first 2 shown]
	v_fmac_f64_e32 v[128:129], v[62:63], v[130:131]
	v_fma_f64 v[138:139], v[56:57], v[80:81], -v[60:61]
	v_mul_f64 v[130:131], v[56:57], v[82:83]
	s_waitcnt lgkmcnt(10)
	v_mul_f64 v[56:57], v[54:55], v[78:79]
	v_fma_f64 v[66:67], v[52:53], v[76:77], -v[56:57]
	v_mul_f64 v[132:133], v[52:53], v[78:79]
	v_add_u32_e32 v52, 0x1540, v160
	v_fmac_f64_e32 v[130:131], v[58:59], v[80:81]
	v_fmac_f64_e32 v[132:133], v[54:55], v[76:77]
	global_load_dwordx4 v[54:57], v52, s[2:3] offset:1840
	global_load_dwordx4 v[58:61], v52, s[2:3] offset:1824
	;; [unrolled: 1-line block ×4, first 2 shown]
	v_accvgpr_write_b32 a177, v77
	v_accvgpr_write_b32 a176, v76
	;; [unrolled: 1-line block ×6, first 2 shown]
	v_add_f64 v[70:71], v[128:129], -v[130:131]
	s_waitcnt vmcnt(3) lgkmcnt(5)
	v_mul_f64 v[146:147], v[36:37], v[56:57]
	s_waitcnt vmcnt(2)
	v_mul_f64 v[144:145], v[40:41], v[60:61]
	s_waitcnt vmcnt(1)
	;; [unrolled: 2-line block ×3, first 2 shown]
	v_mul_f64 v[52:53], v[50:51], v[222:223]
	v_fma_f64 v[148:149], v[48:49], v[220:221], -v[52:53]
	v_mul_f64 v[140:141], v[48:49], v[222:223]
	v_mul_f64 v[48:49], v[46:47], v[64:65]
	v_fma_f64 v[150:151], v[44:45], v[62:63], -v[48:49]
	v_mul_f64 v[44:45], v[42:43], v[60:61]
	v_fma_f64 v[152:153], v[40:41], v[58:59], -v[44:45]
	;; [unrolled: 2-line block ×3, first 2 shown]
	v_add_u32_e32 v36, 0x1980, v160
	global_load_dwordx4 v[76:79], v36, s[2:3] offset:1840
	global_load_dwordx4 v[224:227], v36, s[2:3] offset:1824
	;; [unrolled: 1-line block ×4, first 2 shown]
	s_mov_b32 s2, 0x134454ff
	s_mov_b32 s3, 0x3fee6f0e
	s_mov_b32 s14, s2
	v_fmac_f64_e32 v[146:147], v[38:39], v[54:55]
	v_add_f64 v[38:39], v[116:117], -v[112:113]
	v_fmac_f64_e32 v[144:145], v[42:43], v[58:59]
	v_add_f64 v[42:43], v[114:115], -v[110:111]
	v_add_f64 v[44:45], v[102:103], -v[106:107]
	v_add_f64 v[42:43], v[42:43], v[44:45]
	v_fmac_f64_e32 v[142:143], v[46:47], v[62:63]
	v_add_f64 v[46:47], v[106:107], -v[102:103]
	v_add_f64 v[48:49], v[114:115], -v[102:103]
	v_fmac_f64_e32 v[140:141], v[50:51], v[220:221]
	v_add_f64 v[50:51], v[110:111], -v[106:107]
	v_add_f64 v[52:53], v[84:85], -v[100:101]
	v_accvgpr_write_b32 a199, v57
	v_accvgpr_write_b32 a198, v56
	;; [unrolled: 1-line block ×4, first 2 shown]
	v_add_f64 v[54:55], v[100:101], -v[84:85]
	v_accvgpr_write_b32 a207, v61
	v_accvgpr_write_b32 a206, v60
	;; [unrolled: 1-line block ×4, first 2 shown]
	v_add_f64 v[56:57], v[86:87], -v[98:99]
	v_add_f64 v[58:59], v[74:75], -v[120:121]
	v_add_f64 v[56:57], v[56:57], v[58:59]
	v_add_f64 v[58:59], v[98:99], -v[86:87]
	v_add_f64 v[60:61], v[120:121], -v[74:75]
	v_accvgpr_write_b32 a215, v65
	v_add_f64 v[58:59], v[58:59], v[60:61]
	v_add_f64 v[60:61], v[86:87], -v[74:75]
	v_accvgpr_write_b32 a214, v64
	v_accvgpr_write_b32 a213, v63
	;; [unrolled: 1-line block ×3, first 2 shown]
	v_add_f64 v[62:63], v[98:99], -v[120:121]
	v_add_f64 v[64:65], v[68:69], -v[72:73]
	s_waitcnt vmcnt(3) lgkmcnt(0)
	v_mul_f64 v[172:173], v[20:21], v[78:79]
	s_waitcnt vmcnt(2)
	v_mul_f64 v[168:169], v[24:25], v[226:227]
	s_waitcnt vmcnt(1)
	;; [unrolled: 2-line block ×3, first 2 shown]
	v_mul_f64 v[36:37], v[34:35], v[238:239]
	v_fma_f64 v[170:171], v[32:33], v[236:237], -v[36:37]
	v_mul_f64 v[160:161], v[32:33], v[238:239]
	v_mul_f64 v[32:33], v[30:31], v[234:235]
	v_fma_f64 v[174:175], v[28:29], v[232:233], -v[32:33]
	v_mul_f64 v[28:29], v[26:27], v[226:227]
	v_fma_f64 v[176:177], v[24:25], v[224:225], -v[28:29]
	v_mul_f64 v[24:25], v[22:23], v[78:79]
	v_fma_f64 v[178:179], v[20:21], v[76:77], -v[24:25]
	v_add_f64 v[20:21], v[16:17], v[206:207]
	v_add_f64 v[20:21], v[20:21], v[244:245]
	;; [unrolled: 1-line block ×5, first 2 shown]
	v_fma_f64 v[188:189], -0.5, v[20:21], v[16:17]
	v_add_f64 v[20:21], v[156:157], -v[166:167]
	v_fmac_f64_e32 v[168:169], v[26:27], v[224:225]
	v_fmac_f64_e32 v[172:173], v[22:23], v[76:77]
	v_fma_f64 v[228:229], s[2:3], v[20:21], v[188:189]
	v_add_f64 v[22:23], v[158:159], -v[164:165]
	v_add_f64 v[24:25], v[206:207], -v[244:245]
	;; [unrolled: 1-line block ×3, first 2 shown]
	v_fmac_f64_e32 v[188:189], s[14:15], v[20:21]
	v_fmac_f64_e32 v[228:229], s[0:1], v[22:23]
	v_add_f64 v[24:25], v[24:25], v[26:27]
	v_fmac_f64_e32 v[188:189], s[16:17], v[22:23]
	v_fmac_f64_e32 v[228:229], s[12:13], v[24:25]
	;; [unrolled: 1-line block ×3, first 2 shown]
	v_add_f64 v[24:25], v[206:207], v[230:231]
	v_fmac_f64_e32 v[16:17], -0.5, v[24:25]
	v_fma_f64 v[204:205], s[14:15], v[22:23], v[16:17]
	v_fmac_f64_e32 v[16:17], s[2:3], v[22:23]
	v_fmac_f64_e32 v[204:205], s[0:1], v[20:21]
	;; [unrolled: 1-line block ×3, first 2 shown]
	v_add_f64 v[20:21], v[18:19], v[156:157]
	v_add_f64 v[20:21], v[20:21], v[158:159]
	v_add_f64 v[20:21], v[20:21], v[164:165]
	v_add_f64 v[24:25], v[244:245], -v[206:207]
	v_add_f64 v[26:27], v[246:247], -v[230:231]
	v_add_f64 v[242:243], v[20:21], v[166:167]
	v_add_f64 v[20:21], v[158:159], v[164:165]
	;; [unrolled: 1-line block ×3, first 2 shown]
	v_fma_f64 v[190:191], -0.5, v[20:21], v[18:19]
	v_add_f64 v[20:21], v[206:207], -v[230:231]
	v_fmac_f64_e32 v[204:205], s[12:13], v[24:25]
	v_fmac_f64_e32 v[16:17], s[12:13], v[24:25]
	v_fma_f64 v[230:231], s[14:15], v[20:21], v[190:191]
	v_add_f64 v[22:23], v[244:245], -v[246:247]
	v_add_f64 v[24:25], v[156:157], -v[158:159]
	;; [unrolled: 1-line block ×3, first 2 shown]
	v_fmac_f64_e32 v[190:191], s[2:3], v[20:21]
	v_fmac_f64_e32 v[230:231], s[16:17], v[22:23]
	v_add_f64 v[24:25], v[24:25], v[26:27]
	v_fmac_f64_e32 v[190:191], s[0:1], v[22:23]
	v_fmac_f64_e32 v[230:231], s[12:13], v[24:25]
	;; [unrolled: 1-line block ×3, first 2 shown]
	v_add_f64 v[24:25], v[156:157], v[166:167]
	v_fmac_f64_e32 v[18:19], -0.5, v[24:25]
	v_fma_f64 v[206:207], s[2:3], v[22:23], v[18:19]
	v_fmac_f64_e32 v[18:19], s[14:15], v[22:23]
	v_fmac_f64_e32 v[206:207], s[16:17], v[20:21]
	;; [unrolled: 1-line block ×3, first 2 shown]
	v_add_f64 v[20:21], v[12:13], v[92:93]
	v_add_f64 v[24:25], v[158:159], -v[156:157]
	v_add_f64 v[26:27], v[164:165], -v[166:167]
	v_add_f64 v[20:21], v[20:21], v[94:95]
	v_add_f64 v[24:25], v[24:25], v[26:27]
	;; [unrolled: 1-line block ×3, first 2 shown]
	v_fmac_f64_e32 v[206:207], s[12:13], v[24:25]
	v_fmac_f64_e32 v[18:19], s[12:13], v[24:25]
	v_add_f64 v[24:25], v[20:21], v[118:119]
	v_add_f64 v[20:21], v[94:95], v[124:125]
	v_fma_f64 v[20:21], -0.5, v[20:21], v[12:13]
	v_add_f64 v[22:23], v[88:89], -v[112:113]
	v_fmac_f64_e32 v[162:163], v[30:31], v[232:233]
	v_fma_f64 v[80:81], s[2:3], v[22:23], v[20:21]
	v_add_f64 v[26:27], v[90:91], -v[116:117]
	v_add_f64 v[28:29], v[92:93], -v[94:95]
	;; [unrolled: 1-line block ×3, first 2 shown]
	v_fmac_f64_e32 v[20:21], s[14:15], v[22:23]
	v_fmac_f64_e32 v[80:81], s[0:1], v[26:27]
	v_add_f64 v[28:29], v[28:29], v[30:31]
	v_fmac_f64_e32 v[20:21], s[16:17], v[26:27]
	v_fmac_f64_e32 v[80:81], s[12:13], v[28:29]
	;; [unrolled: 1-line block ×3, first 2 shown]
	v_add_f64 v[28:29], v[92:93], v[118:119]
	v_fmac_f64_e32 v[12:13], -0.5, v[28:29]
	v_fma_f64 v[28:29], s[14:15], v[26:27], v[12:13]
	v_fmac_f64_e32 v[12:13], s[2:3], v[26:27]
	v_fmac_f64_e32 v[28:29], s[0:1], v[22:23]
	;; [unrolled: 1-line block ×3, first 2 shown]
	v_add_f64 v[22:23], v[14:15], v[88:89]
	v_add_f64 v[22:23], v[22:23], v[90:91]
	;; [unrolled: 1-line block ×3, first 2 shown]
	v_add_f64 v[30:31], v[94:95], -v[92:93]
	v_add_f64 v[32:33], v[124:125], -v[118:119]
	v_add_f64 v[26:27], v[22:23], v[112:113]
	v_add_f64 v[22:23], v[90:91], v[116:117]
	;; [unrolled: 1-line block ×3, first 2 shown]
	v_fma_f64 v[22:23], -0.5, v[22:23], v[14:15]
	v_add_f64 v[32:33], v[92:93], -v[118:119]
	v_fmac_f64_e32 v[160:161], v[34:35], v[236:237]
	v_fmac_f64_e32 v[28:29], s[12:13], v[30:31]
	;; [unrolled: 1-line block ×3, first 2 shown]
	v_fma_f64 v[82:83], s[14:15], v[32:33], v[22:23]
	v_add_f64 v[34:35], v[94:95], -v[124:125]
	v_add_f64 v[30:31], v[88:89], -v[90:91]
	;; [unrolled: 1-line block ×3, first 2 shown]
	v_fmac_f64_e32 v[22:23], s[2:3], v[32:33]
	v_fmac_f64_e32 v[82:83], s[16:17], v[34:35]
	v_add_f64 v[30:31], v[30:31], v[36:37]
	v_fmac_f64_e32 v[22:23], s[0:1], v[34:35]
	v_fmac_f64_e32 v[82:83], s[12:13], v[30:31]
	;; [unrolled: 1-line block ×3, first 2 shown]
	v_add_f64 v[30:31], v[88:89], v[112:113]
	v_fmac_f64_e32 v[14:15], -0.5, v[30:31]
	v_fma_f64 v[30:31], s[2:3], v[34:35], v[14:15]
	v_fmac_f64_e32 v[14:15], s[14:15], v[34:35]
	v_fmac_f64_e32 v[30:31], s[16:17], v[32:33]
	;; [unrolled: 1-line block ×3, first 2 shown]
	v_add_f64 v[32:33], v[8:9], v[114:115]
	v_add_f64 v[32:33], v[32:33], v[110:111]
	;; [unrolled: 1-line block ×3, first 2 shown]
	v_add_f64 v[36:37], v[90:91], -v[88:89]
	v_add_f64 v[40:41], v[32:33], v[102:103]
	v_add_f64 v[32:33], v[110:111], v[106:107]
	;; [unrolled: 1-line block ×3, first 2 shown]
	v_fma_f64 v[32:33], -0.5, v[32:33], v[8:9]
	v_add_f64 v[34:35], v[108:109], -v[84:85]
	v_fmac_f64_e32 v[30:31], s[12:13], v[36:37]
	v_fmac_f64_e32 v[14:15], s[12:13], v[36:37]
	v_fma_f64 v[36:37], s[2:3], v[34:35], v[32:33]
	v_add_f64 v[38:39], v[104:105], -v[100:101]
	v_fmac_f64_e32 v[32:33], s[14:15], v[34:35]
	v_fmac_f64_e32 v[36:37], s[0:1], v[38:39]
	;; [unrolled: 1-line block ×5, first 2 shown]
	v_add_f64 v[42:43], v[114:115], v[102:103]
	v_fmac_f64_e32 v[8:9], -0.5, v[42:43]
	v_fma_f64 v[44:45], s[14:15], v[38:39], v[8:9]
	v_fmac_f64_e32 v[8:9], s[2:3], v[38:39]
	v_fmac_f64_e32 v[44:45], s[0:1], v[34:35]
	;; [unrolled: 1-line block ×3, first 2 shown]
	v_add_f64 v[34:35], v[10:11], v[108:109]
	v_add_f64 v[42:43], v[110:111], -v[114:115]
	v_add_f64 v[34:35], v[34:35], v[104:105]
	v_add_f64 v[42:43], v[42:43], v[46:47]
	;; [unrolled: 1-line block ×3, first 2 shown]
	v_fmac_f64_e32 v[44:45], s[12:13], v[42:43]
	v_fmac_f64_e32 v[8:9], s[12:13], v[42:43]
	v_add_f64 v[42:43], v[34:35], v[84:85]
	v_add_f64 v[34:35], v[104:105], v[100:101]
	v_fma_f64 v[34:35], -0.5, v[34:35], v[10:11]
	v_fma_f64 v[38:39], s[14:15], v[48:49], v[34:35]
	v_add_f64 v[46:47], v[108:109], -v[104:105]
	v_fmac_f64_e32 v[34:35], s[2:3], v[48:49]
	v_fmac_f64_e32 v[38:39], s[16:17], v[50:51]
	v_add_f64 v[46:47], v[46:47], v[52:53]
	v_fmac_f64_e32 v[34:35], s[0:1], v[50:51]
	v_fmac_f64_e32 v[38:39], s[12:13], v[46:47]
	;; [unrolled: 1-line block ×3, first 2 shown]
	v_add_f64 v[46:47], v[108:109], v[84:85]
	v_fmac_f64_e32 v[10:11], -0.5, v[46:47]
	v_fma_f64 v[46:47], s[2:3], v[50:51], v[10:11]
	v_fmac_f64_e32 v[10:11], s[14:15], v[50:51]
	v_fmac_f64_e32 v[46:47], s[16:17], v[48:49]
	;; [unrolled: 1-line block ×3, first 2 shown]
	v_add_f64 v[48:49], v[4:5], v[86:87]
	v_add_f64 v[52:53], v[104:105], -v[108:109]
	v_add_f64 v[48:49], v[48:49], v[98:99]
	v_add_f64 v[52:53], v[52:53], v[54:55]
	;; [unrolled: 1-line block ×3, first 2 shown]
	v_fmac_f64_e32 v[46:47], s[12:13], v[52:53]
	v_fmac_f64_e32 v[10:11], s[12:13], v[52:53]
	v_add_f64 v[52:53], v[48:49], v[74:75]
	v_add_f64 v[48:49], v[98:99], v[120:121]
	v_fma_f64 v[48:49], -0.5, v[48:49], v[4:5]
	v_add_f64 v[50:51], v[126:127], -v[68:69]
	v_fma_f64 v[84:85], s[2:3], v[50:51], v[48:49]
	v_add_f64 v[54:55], v[96:97], -v[72:73]
	v_fmac_f64_e32 v[48:49], s[14:15], v[50:51]
	v_fmac_f64_e32 v[84:85], s[0:1], v[54:55]
	;; [unrolled: 1-line block ×5, first 2 shown]
	v_add_f64 v[56:57], v[86:87], v[74:75]
	v_fmac_f64_e32 v[4:5], -0.5, v[56:57]
	v_fma_f64 v[56:57], s[14:15], v[54:55], v[4:5]
	v_fmac_f64_e32 v[4:5], s[2:3], v[54:55]
	v_fmac_f64_e32 v[56:57], s[0:1], v[50:51]
	;; [unrolled: 1-line block ×3, first 2 shown]
	v_add_f64 v[50:51], v[6:7], v[126:127]
	v_add_f64 v[50:51], v[50:51], v[96:97]
	;; [unrolled: 1-line block ×5, first 2 shown]
	v_fma_f64 v[50:51], -0.5, v[50:51], v[6:7]
	v_fmac_f64_e32 v[56:57], s[12:13], v[58:59]
	v_fmac_f64_e32 v[4:5], s[12:13], v[58:59]
	v_fma_f64 v[86:87], s[14:15], v[60:61], v[50:51]
	v_add_f64 v[58:59], v[126:127], -v[96:97]
	v_fmac_f64_e32 v[50:51], s[2:3], v[60:61]
	v_fmac_f64_e32 v[86:87], s[16:17], v[62:63]
	v_add_f64 v[58:59], v[58:59], v[64:65]
	v_fmac_f64_e32 v[50:51], s[0:1], v[62:63]
	v_fmac_f64_e32 v[86:87], s[12:13], v[58:59]
	;; [unrolled: 1-line block ×3, first 2 shown]
	v_add_f64 v[58:59], v[126:127], v[68:69]
	v_fmac_f64_e32 v[6:7], -0.5, v[58:59]
	v_fma_f64 v[58:59], s[2:3], v[62:63], v[6:7]
	v_fmac_f64_e32 v[6:7], s[14:15], v[62:63]
	v_fmac_f64_e32 v[58:59], s[16:17], v[60:61]
	;; [unrolled: 1-line block ×3, first 2 shown]
	v_add_f64 v[60:61], v[0:1], v[134:135]
	v_add_f64 v[60:61], v[60:61], v[136:137]
	v_add_f64 v[64:65], v[96:97], -v[126:127]
	v_add_f64 v[68:69], v[72:73], -v[68:69]
	v_add_f64 v[60:61], v[60:61], v[138:139]
	v_add_f64 v[64:65], v[64:65], v[68:69]
	;; [unrolled: 1-line block ×4, first 2 shown]
	v_fma_f64 v[60:61], -0.5, v[60:61], v[0:1]
	v_add_f64 v[62:63], v[122:123], -v[132:133]
	v_fmac_f64_e32 v[58:59], s[12:13], v[64:65]
	v_fmac_f64_e32 v[6:7], s[12:13], v[64:65]
	v_fma_f64 v[64:65], s[2:3], v[62:63], v[60:61]
	v_add_f64 v[72:73], v[134:135], -v[136:137]
	v_add_f64 v[74:75], v[66:67], -v[138:139]
	v_fmac_f64_e32 v[60:61], s[14:15], v[62:63]
	v_fmac_f64_e32 v[64:65], s[0:1], v[70:71]
	v_add_f64 v[72:73], v[72:73], v[74:75]
	v_fmac_f64_e32 v[60:61], s[16:17], v[70:71]
	v_fmac_f64_e32 v[64:65], s[12:13], v[72:73]
	v_fmac_f64_e32 v[60:61], s[12:13], v[72:73]
	v_add_f64 v[72:73], v[134:135], v[66:67]
	v_fmac_f64_e32 v[0:1], -0.5, v[72:73]
	v_fma_f64 v[72:73], s[14:15], v[70:71], v[0:1]
	v_fmac_f64_e32 v[0:1], s[2:3], v[70:71]
	v_fmac_f64_e32 v[72:73], s[0:1], v[62:63]
	v_fmac_f64_e32 v[0:1], s[16:17], v[62:63]
	v_add_f64 v[62:63], v[2:3], v[122:123]
	v_add_f64 v[62:63], v[62:63], v[128:129]
	v_add_f64 v[62:63], v[62:63], v[130:131]
	v_add_f64 v[74:75], v[136:137], -v[134:135]
	v_add_f64 v[88:89], v[138:139], -v[66:67]
	v_add_f64 v[70:71], v[62:63], v[132:133]
	v_add_f64 v[62:63], v[128:129], v[130:131]
	v_add_f64 v[74:75], v[74:75], v[88:89]
	v_fma_f64 v[62:63], -0.5, v[62:63], v[2:3]
	v_add_f64 v[88:89], v[134:135], -v[66:67]
	v_fmac_f64_e32 v[72:73], s[12:13], v[74:75]
	v_fmac_f64_e32 v[0:1], s[12:13], v[74:75]
	v_fma_f64 v[66:67], s[14:15], v[88:89], v[62:63]
	v_add_f64 v[90:91], v[136:137], -v[138:139]
	v_add_f64 v[74:75], v[122:123], -v[128:129]
	v_add_f64 v[92:93], v[132:133], -v[130:131]
	v_fmac_f64_e32 v[62:63], s[2:3], v[88:89]
	v_fmac_f64_e32 v[66:67], s[16:17], v[90:91]
	v_add_f64 v[74:75], v[74:75], v[92:93]
	v_fmac_f64_e32 v[62:63], s[0:1], v[90:91]
	v_fmac_f64_e32 v[66:67], s[12:13], v[74:75]
	v_fmac_f64_e32 v[62:63], s[12:13], v[74:75]
	v_add_f64 v[74:75], v[122:123], v[132:133]
	v_fmac_f64_e32 v[2:3], -0.5, v[74:75]
	v_fma_f64 v[74:75], s[2:3], v[90:91], v[2:3]
	v_fmac_f64_e32 v[2:3], s[14:15], v[90:91]
	v_fmac_f64_e32 v[74:75], s[16:17], v[88:89]
	v_fmac_f64_e32 v[2:3], s[0:1], v[88:89]
	v_add_f64 v[88:89], v[252:253], v[148:149]
	v_add_f64 v[88:89], v[88:89], v[150:151]
	v_add_f64 v[88:89], v[88:89], v[152:153]
	v_add_f64 v[92:93], v[128:129], -v[122:123]
	v_add_f64 v[94:95], v[130:131], -v[132:133]
	v_add_f64 v[108:109], v[88:89], v[154:155]
	v_add_f64 v[88:89], v[150:151], v[152:153]
	v_add_f64 v[92:93], v[92:93], v[94:95]
	v_fma_f64 v[100:101], -0.5, v[88:89], v[252:253]
	v_add_f64 v[88:89], v[140:141], -v[146:147]
	v_fmac_f64_e32 v[74:75], s[12:13], v[92:93]
	v_fmac_f64_e32 v[2:3], s[12:13], v[92:93]
	v_fma_f64 v[104:105], s[2:3], v[88:89], v[100:101]
	v_add_f64 v[90:91], v[142:143], -v[144:145]
	;; [unrolled: 28-line block ×5, first 2 shown]
	v_add_f64 v[92:93], v[160:161], -v[162:163]
	v_add_f64 v[94:95], v[172:173], -v[168:169]
	v_fmac_f64_e32 v[118:119], s[2:3], v[88:89]
	v_fmac_f64_e32 v[126:127], s[16:17], v[90:91]
	v_add_f64 v[92:93], v[92:93], v[94:95]
	v_fmac_f64_e32 v[118:119], s[0:1], v[90:91]
	v_fmac_f64_e32 v[126:127], s[12:13], v[92:93]
	;; [unrolled: 1-line block ×3, first 2 shown]
	v_add_f64 v[92:93], v[160:161], v[172:173]
	v_fmac_f64_e32 v[250:251], -0.5, v[92:93]
	v_fma_f64 v[166:167], s[2:3], v[90:91], v[250:251]
	v_add_f64 v[92:93], v[162:163], -v[160:161]
	v_add_f64 v[94:95], v[168:169], -v[172:173]
	v_fmac_f64_e32 v[250:251], s[14:15], v[90:91]
	v_fmac_f64_e32 v[166:167], s[16:17], v[88:89]
	v_add_f64 v[92:93], v[92:93], v[94:95]
	v_fmac_f64_e32 v[250:251], s[0:1], v[88:89]
	v_lshl_add_u32 v170, v218, 4, v211
	v_fmac_f64_e32 v[166:167], s[12:13], v[92:93]
	v_fmac_f64_e32 v[250:251], s[12:13], v[92:93]
	ds_write_b128 v210, v[240:243]
	ds_write_b128 v170, v[228:231] offset:1904
	ds_write_b128 v170, v[204:207] offset:3808
	;; [unrolled: 1-line block ×34, first 2 shown]
	v_lshlrev_b32_e32 v8, 4, v218
	v_add_co_u32_e64 v9, s[0:1], s6, v8
	v_mov_b32_e32 v4, s7
	s_waitcnt lgkmcnt(0)
	; wave barrier
	s_waitcnt lgkmcnt(0)
	v_addc_co_u32_e64 v18, s[0:1], 0, v4, s[0:1]
	global_load_dwordx4 v[4:7], v8, s[6:7]
	ds_read_b128 v[0:3], v210
	s_movk_i32 s0, 0x1000
	s_mov_b32 s2, 0x36b3c0b5
	s_mov_b32 s3, 0x3fac98ee
	;; [unrolled: 1-line block ×9, first 2 shown]
	s_waitcnt vmcnt(0) lgkmcnt(0)
	v_mul_f64 v[10:11], v[2:3], v[6:7]
	v_mul_f64 v[12:13], v[0:1], v[6:7]
	v_fma_f64 v[10:11], v[0:1], v[4:5], -v[10:11]
	v_fmac_f64_e32 v[12:13], v[2:3], v[4:5]
	global_load_dwordx4 v[4:7], v8, s[6:7] offset:1360
	ds_read_b128 v[0:3], v210 offset:1360
	ds_write_b128 v210, v[10:13]
	s_waitcnt vmcnt(0) lgkmcnt(1)
	v_mul_f64 v[10:11], v[2:3], v[6:7]
	v_mul_f64 v[12:13], v[0:1], v[6:7]
	v_fma_f64 v[10:11], v[0:1], v[4:5], -v[10:11]
	v_fmac_f64_e32 v[12:13], v[2:3], v[4:5]
	global_load_dwordx4 v[4:7], v8, s[6:7] offset:2720
	ds_read_b128 v[0:3], v210 offset:2720
	ds_write_b128 v210, v[10:13] offset:1360
	s_waitcnt vmcnt(0) lgkmcnt(1)
	v_mul_f64 v[10:11], v[2:3], v[6:7]
	v_mul_f64 v[12:13], v[0:1], v[6:7]
	v_fma_f64 v[10:11], v[0:1], v[4:5], -v[10:11]
	v_fmac_f64_e32 v[12:13], v[2:3], v[4:5]
	global_load_dwordx4 v[4:7], v8, s[6:7] offset:4080
	ds_read_b128 v[0:3], v210 offset:4080
	ds_write_b128 v210, v[10:13] offset:2720
	s_waitcnt vmcnt(0) lgkmcnt(1)
	v_mul_f64 v[10:11], v[2:3], v[6:7]
	v_mul_f64 v[12:13], v[0:1], v[6:7]
	v_fma_f64 v[10:11], v[0:1], v[4:5], -v[10:11]
	v_fmac_f64_e32 v[12:13], v[2:3], v[4:5]
	v_add_co_u32_e64 v4, s[0:1], s0, v9
	v_addc_co_u32_e64 v5, s[0:1], 0, v18, s[0:1]
	ds_write_b128 v210, v[10:13] offset:4080
	global_load_dwordx4 v[10:13], v[4:5], off offset:1344
	ds_read_b128 v[0:3], v210 offset:5440
	s_movk_i32 s0, 0x2000
	s_waitcnt vmcnt(0) lgkmcnt(0)
	v_mul_f64 v[6:7], v[2:3], v[12:13]
	v_mul_f64 v[16:17], v[0:1], v[12:13]
	v_fma_f64 v[14:15], v[0:1], v[10:11], -v[6:7]
	v_fmac_f64_e32 v[16:17], v[2:3], v[10:11]
	global_load_dwordx4 v[10:13], v[4:5], off offset:2704
	ds_read_b128 v[0:3], v210 offset:6800
	ds_write_b128 v210, v[14:17] offset:5440
	s_waitcnt vmcnt(0) lgkmcnt(1)
	v_mul_f64 v[6:7], v[2:3], v[12:13]
	v_mul_f64 v[16:17], v[0:1], v[12:13]
	v_fma_f64 v[14:15], v[0:1], v[10:11], -v[6:7]
	v_fmac_f64_e32 v[16:17], v[2:3], v[10:11]
	global_load_dwordx4 v[10:13], v[4:5], off offset:4064
	ds_read_b128 v[0:3], v210 offset:8160
	ds_write_b128 v210, v[14:17] offset:6800
	s_waitcnt vmcnt(0) lgkmcnt(1)
	v_mul_f64 v[6:7], v[2:3], v[12:13]
	v_mul_f64 v[16:17], v[0:1], v[12:13]
	v_fma_f64 v[14:15], v[0:1], v[10:11], -v[6:7]
	v_fmac_f64_e32 v[16:17], v[2:3], v[10:11]
	global_load_dwordx4 v[10:13], v8, s[6:7] offset:272
	ds_read_b128 v[0:3], v210 offset:272
	ds_write_b128 v210, v[14:17] offset:8160
	s_waitcnt vmcnt(0) lgkmcnt(1)
	v_mul_f64 v[6:7], v[2:3], v[12:13]
	v_mul_f64 v[16:17], v[0:1], v[12:13]
	v_fma_f64 v[14:15], v[0:1], v[10:11], -v[6:7]
	v_fmac_f64_e32 v[16:17], v[2:3], v[10:11]
	global_load_dwordx4 v[10:13], v8, s[6:7] offset:1632
	;; [unrolled: 8-line block ×3, first 2 shown]
	ds_read_b128 v[0:3], v210 offset:2992
	ds_write_b128 v210, v[14:17] offset:1632
	s_waitcnt vmcnt(0) lgkmcnt(1)
	v_mul_f64 v[6:7], v[2:3], v[12:13]
	v_mul_f64 v[16:17], v[0:1], v[12:13]
	v_fma_f64 v[14:15], v[0:1], v[10:11], -v[6:7]
	v_fmac_f64_e32 v[16:17], v[2:3], v[10:11]
	global_load_dwordx4 v[10:13], v[4:5], off offset:256
	ds_read_b128 v[0:3], v210 offset:4352
	ds_write_b128 v210, v[14:17] offset:2992
	s_waitcnt vmcnt(0) lgkmcnt(1)
	v_mul_f64 v[6:7], v[2:3], v[12:13]
	v_mul_f64 v[16:17], v[0:1], v[12:13]
	v_fma_f64 v[14:15], v[0:1], v[10:11], -v[6:7]
	v_fmac_f64_e32 v[16:17], v[2:3], v[10:11]
	global_load_dwordx4 v[10:13], v[4:5], off offset:1616
	ds_read_b128 v[0:3], v210 offset:5712
	ds_write_b128 v210, v[14:17] offset:4352
	s_waitcnt vmcnt(0) lgkmcnt(1)
	v_mul_f64 v[6:7], v[2:3], v[12:13]
	v_mul_f64 v[16:17], v[0:1], v[12:13]
	v_fma_f64 v[14:15], v[0:1], v[10:11], -v[6:7]
	v_fmac_f64_e32 v[16:17], v[2:3], v[10:11]
	global_load_dwordx4 v[10:13], v[4:5], off offset:2976
	ds_read_b128 v[0:3], v210 offset:7072
	ds_write_b128 v210, v[14:17] offset:5712
	s_waitcnt vmcnt(0) lgkmcnt(1)
	v_mul_f64 v[6:7], v[2:3], v[12:13]
	v_fma_f64 v[14:15], v[0:1], v[10:11], -v[6:7]
	v_add_co_u32_e64 v6, s[0:1], s0, v9
	v_mul_f64 v[16:17], v[0:1], v[12:13]
	v_addc_co_u32_e64 v7, s[0:1], 0, v18, s[0:1]
	v_fmac_f64_e32 v[16:17], v[2:3], v[10:11]
	global_load_dwordx4 v[10:13], v[6:7], off offset:240
	ds_read_b128 v[0:3], v210 offset:8432
	ds_write_b128 v210, v[14:17] offset:7072
	v_accvgpr_read_b32 v9, a35
	s_mov_b32 s0, 0x37c3f68c
	s_mov_b32 s1, 0xbfdc38aa
	s_waitcnt vmcnt(0) lgkmcnt(1)
	v_mul_f64 v[14:15], v[2:3], v[12:13]
	v_mul_f64 v[16:17], v[0:1], v[12:13]
	v_fma_f64 v[14:15], v[0:1], v[10:11], -v[14:15]
	v_fmac_f64_e32 v[16:17], v[2:3], v[10:11]
	global_load_dwordx4 v[10:13], v8, s[6:7] offset:544
	ds_read_b128 v[0:3], v210 offset:544
	ds_write_b128 v210, v[14:17] offset:8432
	s_waitcnt vmcnt(0) lgkmcnt(1)
	v_mul_f64 v[14:15], v[2:3], v[12:13]
	v_mul_f64 v[16:17], v[0:1], v[12:13]
	v_fma_f64 v[14:15], v[0:1], v[10:11], -v[14:15]
	v_fmac_f64_e32 v[16:17], v[2:3], v[10:11]
	global_load_dwordx4 v[10:13], v8, s[6:7] offset:1904
	ds_read_b128 v[0:3], v210 offset:1904
	ds_write_b128 v210, v[14:17] offset:544
	;; [unrolled: 8-line block ×3, first 2 shown]
	s_waitcnt vmcnt(0) lgkmcnt(1)
	v_mul_f64 v[14:15], v[2:3], v[12:13]
	v_mul_f64 v[16:17], v[0:1], v[12:13]
	v_fma_f64 v[14:15], v[0:1], v[10:11], -v[14:15]
	v_fmac_f64_e32 v[16:17], v[2:3], v[10:11]
	global_load_dwordx4 v[10:13], v[4:5], off offset:528
	ds_read_b128 v[0:3], v210 offset:4624
	ds_write_b128 v210, v[14:17] offset:3264
	s_waitcnt vmcnt(0) lgkmcnt(1)
	v_mul_f64 v[14:15], v[2:3], v[12:13]
	v_mul_f64 v[16:17], v[0:1], v[12:13]
	v_fma_f64 v[14:15], v[0:1], v[10:11], -v[14:15]
	v_fmac_f64_e32 v[16:17], v[2:3], v[10:11]
	global_load_dwordx4 v[10:13], v[4:5], off offset:1888
	ds_read_b128 v[0:3], v210 offset:5984
	ds_write_b128 v210, v[14:17] offset:4624
	;; [unrolled: 8-line block ×3, first 2 shown]
	s_waitcnt vmcnt(0) lgkmcnt(1)
	v_mul_f64 v[14:15], v[2:3], v[12:13]
	v_mul_f64 v[16:17], v[0:1], v[12:13]
	v_fma_f64 v[14:15], v[0:1], v[10:11], -v[14:15]
	v_fmac_f64_e32 v[16:17], v[2:3], v[10:11]
	global_load_dwordx4 v[10:13], v9, s[6:7]
	ds_read_b128 v[0:3], v210 offset:8704
	ds_write_b128 v210, v[14:17] offset:7344
	s_waitcnt vmcnt(0) lgkmcnt(1)
	v_mul_f64 v[14:15], v[2:3], v[12:13]
	v_mul_f64 v[16:17], v[0:1], v[12:13]
	v_fma_f64 v[14:15], v[0:1], v[10:11], -v[14:15]
	v_fmac_f64_e32 v[16:17], v[2:3], v[10:11]
	global_load_dwordx4 v[10:13], v8, s[6:7] offset:816
	ds_read_b128 v[0:3], v210 offset:816
	ds_write_b128 v210, v[14:17] offset:8704
	s_waitcnt vmcnt(0) lgkmcnt(1)
	v_mul_f64 v[14:15], v[2:3], v[12:13]
	v_mul_f64 v[16:17], v[0:1], v[12:13]
	v_fma_f64 v[14:15], v[0:1], v[10:11], -v[14:15]
	v_fmac_f64_e32 v[16:17], v[2:3], v[10:11]
	global_load_dwordx4 v[10:13], v8, s[6:7] offset:2176
	;; [unrolled: 8-line block ×3, first 2 shown]
	ds_read_b128 v[0:3], v210 offset:3536
	ds_write_b128 v210, v[14:17] offset:2176
	s_waitcnt vmcnt(0) lgkmcnt(1)
	v_mul_f64 v[14:15], v[2:3], v[12:13]
	v_mul_f64 v[16:17], v[0:1], v[12:13]
	v_fma_f64 v[14:15], v[0:1], v[10:11], -v[14:15]
	v_fmac_f64_e32 v[16:17], v[2:3], v[10:11]
	global_load_dwordx4 v[10:13], v[4:5], off offset:800
	ds_read_b128 v[0:3], v210 offset:4896
	ds_write_b128 v210, v[14:17] offset:3536
	s_waitcnt vmcnt(0) lgkmcnt(1)
	v_mul_f64 v[14:15], v[2:3], v[12:13]
	v_mul_f64 v[16:17], v[0:1], v[12:13]
	v_fma_f64 v[14:15], v[0:1], v[10:11], -v[14:15]
	v_fmac_f64_e32 v[16:17], v[2:3], v[10:11]
	global_load_dwordx4 v[10:13], v[4:5], off offset:2160
	;; [unrolled: 8-line block ×4, first 2 shown]
	ds_read_b128 v[0:3], v210 offset:8976
	ds_write_b128 v210, v[14:17] offset:7616
	s_waitcnt vmcnt(0) lgkmcnt(1)
	v_mul_f64 v[14:15], v[2:3], v[12:13]
	v_mul_f64 v[16:17], v[0:1], v[12:13]
	v_fma_f64 v[14:15], v[0:1], v[10:11], -v[14:15]
	v_fmac_f64_e32 v[16:17], v[2:3], v[10:11]
	global_load_dwordx4 v[10:13], v8, s[6:7] offset:1088
	ds_read_b128 v[0:3], v210 offset:1088
	ds_write_b128 v210, v[14:17] offset:8976
	s_waitcnt vmcnt(0) lgkmcnt(1)
	v_mul_f64 v[14:15], v[2:3], v[12:13]
	v_mul_f64 v[16:17], v[0:1], v[12:13]
	v_fma_f64 v[14:15], v[0:1], v[10:11], -v[14:15]
	v_fmac_f64_e32 v[16:17], v[2:3], v[10:11]
	global_load_dwordx4 v[10:13], v8, s[6:7] offset:2448
	;; [unrolled: 8-line block ×3, first 2 shown]
	ds_read_b128 v[0:3], v210 offset:3808
	ds_write_b128 v210, v[14:17] offset:2448
	s_mov_b32 s6, 0x429ad128
	s_mov_b32 s7, 0xbfebfeb5
	s_waitcnt vmcnt(0) lgkmcnt(1)
	v_mul_f64 v[12:13], v[2:3], v[10:11]
	v_mul_f64 v[14:15], v[0:1], v[10:11]
	v_fma_f64 v[12:13], v[0:1], v[8:9], -v[12:13]
	v_fmac_f64_e32 v[14:15], v[2:3], v[8:9]
	global_load_dwordx4 v[8:11], v[4:5], off offset:1072
	ds_read_b128 v[0:3], v210 offset:5168
	ds_write_b128 v210, v[12:15] offset:3808
	s_waitcnt vmcnt(0) lgkmcnt(1)
	v_mul_f64 v[12:13], v[2:3], v[10:11]
	v_mul_f64 v[14:15], v[0:1], v[10:11]
	v_fma_f64 v[12:13], v[0:1], v[8:9], -v[12:13]
	v_fmac_f64_e32 v[14:15], v[2:3], v[8:9]
	global_load_dwordx4 v[8:11], v[4:5], off offset:2432
	ds_read_b128 v[0:3], v210 offset:6528
	ds_write_b128 v210, v[12:15] offset:5168
	;; [unrolled: 8-line block ×3, first 2 shown]
	s_waitcnt vmcnt(0) lgkmcnt(1)
	v_mul_f64 v[4:5], v[2:3], v[10:11]
	v_fma_f64 v[12:13], v[0:1], v[8:9], -v[4:5]
	global_load_dwordx4 v[4:7], v[6:7], off offset:1056
	v_mul_f64 v[14:15], v[0:1], v[10:11]
	v_fmac_f64_e32 v[14:15], v[2:3], v[8:9]
	ds_read_b128 v[0:3], v210 offset:9248
	ds_write_b128 v210, v[12:15] offset:7888
	s_waitcnt vmcnt(0) lgkmcnt(1)
	v_mul_f64 v[8:9], v[2:3], v[6:7]
	v_mul_f64 v[10:11], v[0:1], v[6:7]
	v_fma_f64 v[8:9], v[0:1], v[4:5], -v[8:9]
	v_fmac_f64_e32 v[10:11], v[2:3], v[4:5]
	ds_write_b128 v210, v[8:11] offset:9248
	s_waitcnt lgkmcnt(0)
	; wave barrier
	s_waitcnt lgkmcnt(0)
	ds_read_b128 v[0:3], v210
	ds_read_b128 v[4:7], v210 offset:1360
	ds_read_b128 v[16:19], v210 offset:2720
	ds_read_b128 v[8:11], v210 offset:4080
	ds_read_b128 v[12:15], v210 offset:5440
	ds_read_b128 v[20:23], v210 offset:6800
	ds_read_b128 v[24:27], v210 offset:8160
	ds_read_b128 v[32:35], v210 offset:272
	ds_read_b128 v[36:39], v210 offset:1632
	ds_read_b128 v[44:47], v210 offset:2992
	ds_read_b128 v[40:43], v210 offset:4352
	ds_read_b128 v[48:51], v210 offset:5712
	ds_read_b128 v[52:55], v210 offset:7072
	ds_read_b128 v[56:59], v210 offset:8432
	ds_read_b128 v[60:63], v210 offset:544
	ds_read_b128 v[68:71], v210 offset:1904
	ds_read_b128 v[64:67], v210 offset:3264
	ds_read_b128 v[72:75], v210 offset:4624
	ds_read_b128 v[80:83], v210 offset:5984
	ds_read_b128 v[84:87], v210 offset:7344
	ds_read_b128 v[100:103], v210 offset:8704
	ds_read_b128 v[104:107], v210 offset:816
	ds_read_b128 v[108:111], v210 offset:2176
	ds_read_b128 v[116:119], v210 offset:3536
	ds_read_b128 v[112:115], v210 offset:4896
	ds_read_b128 v[124:127], v210 offset:6256
	ds_read_b128 v[156:159], v210 offset:7616
	ds_read_b128 v[164:167], v210 offset:8976
	ds_read_b128 v[28:31], v210 offset:1088
	ds_read_b128 v[188:191], v210 offset:2448
	ds_read_b128 v[204:207], v210 offset:3808
	ds_read_b128 v[228:231], v210 offset:5168
	ds_read_b128 v[240:243], v210 offset:6528
	ds_read_b128 v[248:251], v210 offset:7888
	ds_read_b128 v[252:255], v210 offset:9248
	s_waitcnt lgkmcnt(14)
	v_add_f64 v[88:89], v[4:5], v[24:25]
	v_add_f64 v[4:5], v[4:5], -v[24:25]
	v_add_f64 v[24:25], v[16:17], v[20:21]
	v_add_f64 v[90:91], v[6:7], v[26:27]
	v_add_f64 v[6:7], v[6:7], -v[26:27]
	v_add_f64 v[26:27], v[18:19], v[22:23]
	v_add_f64 v[16:17], v[16:17], -v[20:21]
	;; [unrolled: 2-line block ×5, first 2 shown]
	v_add_f64 v[14:15], v[26:27], v[90:91]
	v_add_f64 v[12:13], v[20:21], v[12:13]
	;; [unrolled: 1-line block ×4, first 2 shown]
	v_add_f64 v[92:93], v[24:25], -v[88:89]
	v_add_f64 v[94:95], v[26:27], -v[90:91]
	;; [unrolled: 1-line block ×6, first 2 shown]
	v_add_f64 v[96:97], v[8:9], v[16:17]
	v_add_f64 v[98:99], v[10:11], v[18:19]
	v_add_f64 v[120:121], v[8:9], -v[16:17]
	v_add_f64 v[122:123], v[10:11], -v[18:19]
	;; [unrolled: 1-line block ×4, first 2 shown]
	v_add_f64 v[2:3], v[2:3], v[14:15]
	v_pk_mov_b32 v[128:129], v[0:1], v[0:1] op_sel:[0,1]
	v_add_f64 v[8:9], v[4:5], -v[8:9]
	v_add_f64 v[10:11], v[6:7], -v[10:11]
	v_add_f64 v[4:5], v[96:97], v[4:5]
	v_add_f64 v[6:7], v[98:99], v[6:7]
	v_mul_f64 v[20:21], v[88:89], s[22:23]
	v_mul_f64 v[22:23], v[90:91], s[22:23]
	v_mul_f64 v[88:89], v[24:25], s[2:3]
	v_mul_f64 v[90:91], v[26:27], s[2:3]
	v_mul_f64 v[96:97], v[120:121], s[24:25]
	v_mul_f64 v[98:99], v[122:123], s[24:25]
	v_mul_f64 v[120:121], v[16:17], s[6:7]
	v_mul_f64 v[122:123], v[18:19], s[6:7]
	v_fmac_f64_e32 v[128:129], s[20:21], v[12:13]
	v_pk_mov_b32 v[12:13], v[2:3], v[2:3] op_sel:[0,1]
	v_fmac_f64_e32 v[12:13], s[20:21], v[14:15]
	v_fma_f64 v[14:15], v[92:93], s[12:13], -v[88:89]
	v_fma_f64 v[88:89], v[94:95], s[12:13], -v[90:91]
	;; [unrolled: 1-line block ×4, first 2 shown]
	v_fmac_f64_e32 v[96:97], s[16:17], v[8:9]
	v_fma_f64 v[120:121], v[8:9], s[18:19], -v[120:121]
	v_fma_f64 v[8:9], v[10:11], s[18:19], -v[122:123]
	v_fmac_f64_e32 v[20:21], s[2:3], v[24:25]
	v_fma_f64 v[24:25], v[94:95], s[14:15], -v[22:23]
	v_fma_f64 v[94:95], v[18:19], s[6:7], -v[98:99]
	v_fmac_f64_e32 v[98:99], s[16:17], v[10:11]
	v_add_f64 v[10:11], v[14:15], v[128:129]
	v_add_f64 v[14:15], v[88:89], v[12:13]
	v_add_f64 v[88:89], v[90:91], v[128:129]
	v_fmac_f64_e32 v[8:9], s[0:1], v[6:7]
	v_fmac_f64_e32 v[22:23], s[2:3], v[26:27]
	v_add_f64 v[122:123], v[20:21], v[128:129]
	v_add_f64 v[90:91], v[24:25], v[12:13]
	v_fmac_f64_e32 v[94:95], s[0:1], v[6:7]
	v_fmac_f64_e32 v[120:121], s[0:1], v[4:5]
	v_add_f64 v[20:21], v[88:89], v[8:9]
	v_add_f64 v[8:9], v[88:89], -v[8:9]
	v_add_f64 v[88:89], v[36:37], v[56:57]
	v_add_f64 v[36:37], v[36:37], -v[56:57]
	v_add_f64 v[56:57], v[44:45], v[52:53]
	v_add_f64 v[130:131], v[22:23], v[12:13]
	v_add_f64 v[22:23], v[90:91], -v[120:121]
	v_add_f64 v[16:17], v[10:11], -v[94:95]
	v_add_f64 v[12:13], v[10:11], v[94:95]
	v_add_f64 v[10:11], v[120:121], v[90:91]
	v_add_f64 v[90:91], v[38:39], v[58:59]
	v_add_f64 v[38:39], v[38:39], -v[58:59]
	v_add_f64 v[58:59], v[46:47], v[54:55]
	v_add_f64 v[44:45], v[44:45], -v[52:53]
	v_add_f64 v[52:53], v[40:41], v[48:49]
	;; [unrolled: 2-line block ×5, first 2 shown]
	v_add_f64 v[48:49], v[52:53], v[48:49]
	v_fmac_f64_e32 v[96:97], s[0:1], v[4:5]
	v_fmac_f64_e32 v[98:99], s[0:1], v[6:7]
	;; [unrolled: 1-line block ×3, first 2 shown]
	v_add_f64 v[50:51], v[54:55], v[50:51]
	v_add_f64 v[32:33], v[32:33], v[48:49]
	;; [unrolled: 1-line block ×3, first 2 shown]
	v_add_f64 v[26:27], v[130:131], -v[96:97]
	v_add_f64 v[18:19], v[92:93], v[14:15]
	v_add_f64 v[14:15], v[14:15], -v[92:93]
	v_add_f64 v[4:5], v[122:123], -v[98:99]
	v_add_f64 v[6:7], v[96:97], v[130:131]
	v_add_f64 v[92:93], v[56:57], -v[88:89]
	v_add_f64 v[94:95], v[58:59], -v[90:91]
	;; [unrolled: 1-line block ×6, first 2 shown]
	v_add_f64 v[96:97], v[40:41], v[44:45]
	v_add_f64 v[98:99], v[42:43], v[46:47]
	v_add_f64 v[120:121], v[40:41], -v[44:45]
	v_add_f64 v[122:123], v[42:43], -v[46:47]
	v_add_f64 v[44:45], v[44:45], -v[36:37]
	v_add_f64 v[46:47], v[46:47], -v[38:39]
	v_add_f64 v[34:35], v[34:35], v[50:51]
	v_pk_mov_b32 v[128:129], v[32:33], v[32:33] op_sel:[0,1]
	v_add_f64 v[40:41], v[36:37], -v[40:41]
	v_add_f64 v[42:43], v[38:39], -v[42:43]
	v_add_f64 v[36:37], v[96:97], v[36:37]
	v_add_f64 v[38:39], v[98:99], v[38:39]
	v_mul_f64 v[52:53], v[88:89], s[22:23]
	v_mul_f64 v[54:55], v[90:91], s[22:23]
	;; [unrolled: 1-line block ×8, first 2 shown]
	v_fmac_f64_e32 v[128:129], s[20:21], v[48:49]
	v_pk_mov_b32 v[48:49], v[34:35], v[34:35] op_sel:[0,1]
	v_fmac_f64_e32 v[48:49], s[20:21], v[50:51]
	v_fma_f64 v[50:51], v[92:93], s[12:13], -v[88:89]
	v_fma_f64 v[88:89], v[94:95], s[12:13], -v[90:91]
	;; [unrolled: 1-line block ×3, first 2 shown]
	v_fmac_f64_e32 v[52:53], s[2:3], v[56:57]
	v_fma_f64 v[56:57], v[94:95], s[14:15], -v[54:55]
	v_fma_f64 v[92:93], v[44:45], s[6:7], -v[96:97]
	v_fmac_f64_e32 v[96:97], s[16:17], v[40:41]
	v_fma_f64 v[94:95], v[40:41], s[18:19], -v[120:121]
	v_fma_f64 v[40:41], v[42:43], s[18:19], -v[122:123]
	;; [unrolled: 1-line block ×3, first 2 shown]
	v_add_f64 v[46:47], v[88:89], v[48:49]
	v_add_f64 v[88:89], v[90:91], v[128:129]
	v_fmac_f64_e32 v[92:93], s[0:1], v[36:37]
	v_fmac_f64_e32 v[40:41], s[0:1], v[38:39]
	;; [unrolled: 1-line block ×4, first 2 shown]
	v_add_f64 v[120:121], v[52:53], v[128:129]
	v_add_f64 v[42:43], v[50:51], v[128:129]
	;; [unrolled: 1-line block ×3, first 2 shown]
	v_fmac_f64_e32 v[44:45], s[0:1], v[38:39]
	v_fmac_f64_e32 v[94:95], s[0:1], v[36:37]
	v_add_f64 v[52:53], v[88:89], v[40:41]
	v_add_f64 v[50:51], v[92:93], v[46:47]
	v_add_f64 v[46:47], v[46:47], -v[92:93]
	v_add_f64 v[40:41], v[88:89], -v[40:41]
	v_add_f64 v[88:89], v[68:69], v[100:101]
	v_add_f64 v[92:93], v[64:65], v[84:85]
	;; [unrolled: 1-line block ×3, first 2 shown]
	v_add_f64 v[54:55], v[90:91], -v[94:95]
	v_add_f64 v[48:49], v[42:43], -v[44:45]
	v_add_f64 v[44:45], v[42:43], v[44:45]
	v_add_f64 v[42:43], v[94:95], v[90:91]
	;; [unrolled: 1-line block ×4, first 2 shown]
	v_add_f64 v[64:65], v[64:65], -v[84:85]
	v_add_f64 v[84:85], v[72:73], v[80:81]
	v_add_f64 v[72:73], v[80:81], -v[72:73]
	v_add_f64 v[80:81], v[92:93], v[88:89]
	;; [unrolled: 2-line block ×4, first 2 shown]
	v_add_f64 v[80:81], v[84:85], v[80:81]
	v_fmac_f64_e32 v[96:97], s[0:1], v[36:37]
	v_fmac_f64_e32 v[98:99], s[0:1], v[38:39]
	v_add_f64 v[70:71], v[70:71], -v[102:103]
	v_add_f64 v[82:83], v[86:87], v[82:83]
	v_add_f64 v[60:61], v[60:61], v[80:81]
	;; [unrolled: 1-line block ×3, first 2 shown]
	v_add_f64 v[58:59], v[122:123], -v[96:97]
	v_add_f64 v[36:37], v[120:121], -v[98:99]
	v_add_f64 v[38:39], v[96:97], v[122:123]
	v_add_f64 v[68:69], v[68:69], -v[100:101]
	v_add_f64 v[96:97], v[92:93], -v[88:89]
	;; [unrolled: 1-line block ×7, first 2 shown]
	v_add_f64 v[102:103], v[74:75], v[66:67]
	v_add_f64 v[122:123], v[74:75], -v[66:67]
	v_add_f64 v[66:67], v[66:67], -v[70:71]
	v_add_f64 v[62:63], v[62:63], v[82:83]
	v_pk_mov_b32 v[128:129], v[60:61], v[60:61] op_sel:[0,1]
	v_add_f64 v[100:101], v[72:73], v[64:65]
	v_add_f64 v[120:121], v[72:73], -v[64:65]
	v_add_f64 v[74:75], v[70:71], -v[74:75]
	;; [unrolled: 1-line block ×3, first 2 shown]
	v_add_f64 v[70:71], v[102:103], v[70:71]
	v_mul_f64 v[84:85], v[88:89], s[22:23]
	v_mul_f64 v[86:87], v[90:91], s[22:23]
	;; [unrolled: 1-line block ×5, first 2 shown]
	v_fmac_f64_e32 v[128:129], s[20:21], v[80:81]
	v_pk_mov_b32 v[80:81], v[62:63], v[62:63] op_sel:[0,1]
	v_add_f64 v[72:73], v[68:69], -v[72:73]
	v_add_f64 v[68:69], v[100:101], v[68:69]
	v_mul_f64 v[120:121], v[120:121], s[24:25]
	v_mul_f64 v[122:123], v[122:123], s[24:25]
	v_mul_f64 v[100:101], v[64:65], s[6:7]
	v_fmac_f64_e32 v[80:81], s[20:21], v[82:83]
	v_fma_f64 v[82:83], v[96:97], s[12:13], -v[88:89]
	v_fma_f64 v[88:89], v[98:99], s[12:13], -v[90:91]
	;; [unrolled: 1-line block ×4, first 2 shown]
	v_fmac_f64_e32 v[84:85], s[2:3], v[92:93]
	v_fma_f64 v[92:93], v[98:99], s[14:15], -v[86:87]
	v_fmac_f64_e32 v[86:87], s[2:3], v[94:95]
	v_fma_f64 v[64:65], v[64:65], s[6:7], -v[120:121]
	;; [unrolled: 2-line block ×4, first 2 shown]
	v_add_f64 v[74:75], v[88:89], v[80:81]
	v_add_f64 v[88:89], v[90:91], v[128:129]
	v_fmac_f64_e32 v[96:97], s[0:1], v[70:71]
	v_add_f64 v[98:99], v[84:85], v[128:129]
	v_add_f64 v[130:131], v[86:87], v[80:81]
	;; [unrolled: 1-line block ×4, first 2 shown]
	v_fmac_f64_e32 v[120:121], s[0:1], v[68:69]
	v_fmac_f64_e32 v[122:123], s[0:1], v[70:71]
	v_fmac_f64_e32 v[64:65], s[0:1], v[68:69]
	v_fmac_f64_e32 v[66:67], s[0:1], v[70:71]
	v_fmac_f64_e32 v[94:95], s[0:1], v[68:69]
	v_add_f64 v[84:85], v[88:89], v[96:97]
	v_add_f64 v[68:69], v[88:89], -v[96:97]
	s_waitcnt lgkmcnt(7)
	v_add_f64 v[88:89], v[108:109], v[164:165]
	v_add_f64 v[96:97], v[116:117], v[156:157]
	;; [unrolled: 1-line block ×3, first 2 shown]
	v_add_f64 v[102:103], v[130:131], -v[120:121]
	v_add_f64 v[86:87], v[90:91], -v[94:95]
	;; [unrolled: 1-line block ×3, first 2 shown]
	v_add_f64 v[82:83], v[64:65], v[74:75]
	v_add_f64 v[72:73], v[72:73], v[66:67]
	v_add_f64 v[74:75], v[74:75], -v[64:65]
	v_add_f64 v[70:71], v[94:95], v[90:91]
	v_add_f64 v[64:65], v[98:99], -v[122:123]
	v_add_f64 v[66:67], v[120:121], v[130:131]
	v_add_f64 v[90:91], v[110:111], v[166:167]
	v_add_f64 v[92:93], v[108:109], -v[164:165]
	v_add_f64 v[98:99], v[118:119], v[158:159]
	v_add_f64 v[108:109], v[116:117], -v[156:157]
	v_add_f64 v[116:117], v[112:113], v[124:125]
	v_add_f64 v[120:121], v[96:97], v[88:89]
	v_add_f64 v[94:95], v[110:111], -v[166:167]
	v_add_f64 v[110:111], v[118:119], -v[158:159]
	v_add_f64 v[118:119], v[114:115], v[126:127]
	v_add_f64 v[112:113], v[124:125], -v[112:113]
	v_add_f64 v[122:123], v[98:99], v[90:91]
	v_add_f64 v[124:125], v[96:97], -v[88:89]
	v_add_f64 v[88:89], v[88:89], -v[116:117]
	;; [unrolled: 1-line block ×3, first 2 shown]
	v_add_f64 v[116:117], v[116:117], v[120:121]
	v_add_f64 v[114:115], v[126:127], -v[114:115]
	v_add_f64 v[126:127], v[98:99], -v[90:91]
	;; [unrolled: 1-line block ×4, first 2 shown]
	v_add_f64 v[118:119], v[118:119], v[122:123]
	v_add_f64 v[104:105], v[104:105], v[116:117]
	;; [unrolled: 1-line block ×4, first 2 shown]
	v_add_f64 v[132:133], v[112:113], -v[108:109]
	v_add_f64 v[134:135], v[114:115], -v[110:111]
	;; [unrolled: 1-line block ×4, first 2 shown]
	v_add_f64 v[106:107], v[106:107], v[118:119]
	v_pk_mov_b32 v[136:137], v[104:105], v[104:105] op_sel:[0,1]
	v_add_f64 v[112:113], v[92:93], -v[112:113]
	v_add_f64 v[114:115], v[94:95], -v[114:115]
	v_add_f64 v[92:93], v[128:129], v[92:93]
	v_add_f64 v[94:95], v[130:131], v[94:95]
	v_mul_f64 v[88:89], v[88:89], s[22:23]
	v_mul_f64 v[90:91], v[90:91], s[22:23]
	;; [unrolled: 1-line block ×8, first 2 shown]
	v_fmac_f64_e32 v[136:137], s[20:21], v[116:117]
	v_pk_mov_b32 v[116:117], v[106:107], v[106:107] op_sel:[0,1]
	v_fmac_f64_e32 v[116:117], s[20:21], v[118:119]
	v_fma_f64 v[118:119], v[124:125], s[12:13], -v[120:121]
	v_fma_f64 v[120:121], v[126:127], s[12:13], -v[122:123]
	;; [unrolled: 1-line block ×3, first 2 shown]
	v_fmac_f64_e32 v[88:89], s[2:3], v[96:97]
	v_fma_f64 v[96:97], v[126:127], s[14:15], -v[90:91]
	v_fmac_f64_e32 v[90:91], s[2:3], v[98:99]
	v_fma_f64 v[98:99], v[108:109], s[6:7], -v[128:129]
	;; [unrolled: 2-line block ×3, first 2 shown]
	v_fma_f64 v[110:111], v[112:113], s[18:19], -v[132:133]
	v_fma_f64 v[112:113], v[114:115], s[18:19], -v[134:135]
	v_fmac_f64_e32 v[130:131], s[16:17], v[114:115]
	v_add_f64 v[90:91], v[90:91], v[116:117]
	v_add_f64 v[114:115], v[118:119], v[136:137]
	;; [unrolled: 1-line block ×5, first 2 shown]
	v_fmac_f64_e32 v[128:129], s[0:1], v[92:93]
	v_fmac_f64_e32 v[108:109], s[0:1], v[94:95]
	;; [unrolled: 1-line block ×4, first 2 shown]
	v_add_f64 v[88:89], v[88:89], v[136:137]
	v_fmac_f64_e32 v[130:131], s[0:1], v[94:95]
	v_add_f64 v[166:167], v[90:91], -v[128:129]
	v_add_f64 v[156:157], v[120:121], v[112:113]
	v_add_f64 v[158:159], v[96:97], -v[110:111]
	v_add_f64 v[124:125], v[114:115], -v[108:109]
	v_add_f64 v[116:117], v[114:115], v[108:109]
	v_add_f64 v[112:113], v[120:121], -v[112:113]
	v_add_f64 v[114:115], v[110:111], v[96:97]
	v_add_f64 v[110:111], v[128:129], v[90:91]
	s_waitcnt lgkmcnt(0)
	v_add_f64 v[120:121], v[188:189], v[252:253]
	v_add_f64 v[128:129], v[204:205], v[248:249]
	;; [unrolled: 1-line block ×3, first 2 shown]
	v_add_f64 v[108:109], v[88:89], -v[130:131]
	v_add_f64 v[122:123], v[190:191], v[254:255]
	v_add_f64 v[130:131], v[206:207], v[250:251]
	;; [unrolled: 1-line block ×4, first 2 shown]
	v_fmac_f64_e32 v[98:99], s[0:1], v[92:93]
	v_add_f64 v[92:93], v[230:231], v[242:243]
	v_add_f64 v[138:139], v[130:131], v[122:123]
	v_add_f64 v[140:141], v[128:129], -v[120:121]
	v_add_f64 v[120:121], v[120:121], -v[94:95]
	;; [unrolled: 1-line block ×3, first 2 shown]
	v_add_f64 v[94:95], v[94:95], v[136:137]
	v_add_f64 v[126:127], v[98:99], v[118:119]
	v_add_f64 v[118:119], v[118:119], -v[98:99]
	v_add_f64 v[90:91], v[190:191], -v[254:255]
	;; [unrolled: 1-line block ×9, first 2 shown]
	v_add_f64 v[92:93], v[92:93], v[138:139]
	v_add_f64 v[28:29], v[28:29], v[94:95]
	v_add_f64 v[88:89], v[188:189], -v[252:253]
	v_add_f64 v[144:145], v[132:133], v[96:97]
	v_add_f64 v[146:147], v[134:135], v[98:99]
	v_add_f64 v[148:149], v[132:133], -v[96:97]
	v_add_f64 v[150:151], v[134:135], -v[98:99]
	v_add_f64 v[98:99], v[98:99], -v[90:91]
	v_add_f64 v[30:31], v[30:31], v[92:93]
	v_pk_mov_b32 v[152:153], v[28:29], v[28:29] op_sel:[0,1]
	v_add_f64 v[132:133], v[88:89], -v[132:133]
	v_add_f64 v[134:135], v[90:91], -v[134:135]
	;; [unrolled: 1-line block ×3, first 2 shown]
	v_add_f64 v[88:89], v[144:145], v[88:89]
	v_add_f64 v[90:91], v[146:147], v[90:91]
	v_mul_f64 v[120:121], v[120:121], s[22:23]
	v_mul_f64 v[136:137], v[128:129], s[2:3]
	;; [unrolled: 1-line block ×6, first 2 shown]
	v_fmac_f64_e32 v[152:153], s[20:21], v[94:95]
	v_pk_mov_b32 v[94:95], v[30:31], v[30:31] op_sel:[0,1]
	v_mul_f64 v[122:123], v[122:123], s[22:23]
	v_mul_f64 v[148:149], v[96:97], s[6:7]
	v_fmac_f64_e32 v[94:95], s[20:21], v[92:93]
	v_fma_f64 v[92:93], s[2:3], v[128:129], v[120:121]
	v_fma_f64 v[128:129], v[140:141], s[12:13], -v[136:137]
	v_fma_f64 v[136:137], v[142:143], s[12:13], -v[138:139]
	;; [unrolled: 1-line block ×5, first 2 shown]
	v_fmac_f64_e32 v[146:147], s[16:17], v[134:135]
	v_fma_f64 v[134:135], v[134:135], s[18:19], -v[150:151]
	v_fma_f64 v[138:139], v[142:143], s[14:15], -v[122:123]
	v_fmac_f64_e32 v[122:123], s[2:3], v[130:131]
	v_add_f64 v[140:141], v[92:93], v[152:153]
	v_add_f64 v[92:93], v[128:129], v[152:153]
	;; [unrolled: 1-line block ×4, first 2 shown]
	v_fmac_f64_e32 v[96:97], s[0:1], v[88:89]
	v_fmac_f64_e32 v[134:135], s[0:1], v[90:91]
	v_add_f64 v[122:123], v[122:123], v[94:95]
	v_add_f64 v[136:137], v[138:139], v[94:95]
	v_fmac_f64_e32 v[146:147], s[0:1], v[90:91]
	v_fmac_f64_e32 v[98:99], s[0:1], v[90:91]
	v_add_f64 v[188:189], v[120:121], v[134:135]
	v_add_f64 v[90:91], v[96:97], v[128:129]
	v_add_f64 v[94:95], v[128:129], -v[96:97]
	v_add_f64 v[96:97], v[120:121], -v[134:135]
	s_waitcnt lgkmcnt(0)
	; wave barrier
	buffer_load_dword v120, off, s[60:63], 0 offset:568 ; 4-byte Folded Reload
	s_waitcnt vmcnt(0)
	ds_write_b128 v120, v[0:3]
	ds_write_b128 v120, v[24:27] offset:16
	ds_write_b128 v120, v[20:23] offset:32
	;; [unrolled: 1-line block ×6, first 2 shown]
	v_accvgpr_read_b32 v0, a254
	v_fma_f64 v[130:131], s[16:17], v[132:133], v[144:145]
	v_fma_f64 v[132:133], v[132:133], s[18:19], -v[148:149]
	ds_write_b128 v0, v[32:35]
	ds_write_b128 v0, v[56:59] offset:16
	ds_write_b128 v0, v[52:55] offset:32
	;; [unrolled: 1-line block ×6, first 2 shown]
	v_accvgpr_read_b32 v0, a255
	v_fmac_f64_e32 v[130:131], s[0:1], v[88:89]
	v_fmac_f64_e32 v[132:133], s[0:1], v[88:89]
	ds_write_b128 v0, v[60:63]
	ds_write_b128 v0, v[100:103] offset:16
	ds_write_b128 v0, v[84:87] offset:32
	;; [unrolled: 1-line block ×6, first 2 shown]
	v_accvgpr_read_b32 v0, a21
	v_add_f64 v[204:205], v[140:141], v[146:147]
	v_add_f64 v[206:207], v[122:123], -v[130:131]
	v_add_f64 v[190:191], v[136:137], -v[132:133]
	ds_write_b128 v0, v[104:107]
	ds_write_b128 v0, v[164:167] offset:16
	ds_write_b128 v0, v[156:159] offset:32
	;; [unrolled: 1-line block ×6, first 2 shown]
	v_accvgpr_read_b32 v0, a220
	v_add_f64 v[88:89], v[92:93], -v[98:99]
	v_add_f64 v[92:93], v[92:93], v[98:99]
	v_add_f64 v[98:99], v[132:133], v[136:137]
	v_add_f64 v[248:249], v[140:141], -v[146:147]
	v_add_f64 v[250:251], v[130:131], v[122:123]
	ds_write_b128 v0, v[28:31]
	ds_write_b128 v0, v[204:207] offset:16
	ds_write_b128 v0, v[188:191] offset:32
	;; [unrolled: 1-line block ×6, first 2 shown]
	s_waitcnt lgkmcnt(0)
	; wave barrier
	s_waitcnt lgkmcnt(0)
	ds_read_b128 v[8:11], v210
	ds_read_b128 v[252:255], v210 offset:560
	ds_read_b128 v[240:243], v210 offset:1120
	;; [unrolled: 1-line block ×33, first 2 shown]
	s_and_saveexec_b64 s[0:1], vcc
	s_cbranch_execz .LBB0_7
; %bb.6:
	ds_read_b128 v[248:251], v210 offset:544
	ds_read_b128 v[212:215], v211 offset:1104
	;; [unrolled: 1-line block ×17, first 2 shown]
.LBB0_7:
	s_or_b64 exec, exec, s[0:1]
	buffer_load_dword v90, off, s[60:63], 0 offset:620 ; 4-byte Folded Reload
	buffer_load_dword v91, off, s[60:63], 0 offset:624 ; 4-byte Folded Reload
	;; [unrolled: 1-line block ×4, first 2 shown]
	v_accvgpr_read_b32 v120, a222
	v_accvgpr_read_b32 v122, a224
	;; [unrolled: 1-line block ×4, first 2 shown]
	s_mov_b32 s6, 0x5d8e7cdc
	s_mov_b32 s0, 0x370991
	;; [unrolled: 1-line block ×46, first 2 shown]
	v_add_u32_e32 v171, 0x330, v210
	v_add_u32_e32 v217, 0x440, v210
	;; [unrolled: 1-line block ×4, first 2 shown]
	s_waitcnt vmcnt(0) lgkmcnt(14)
	v_mul_f64 v[176:177], v[92:93], v[254:255]
	v_mul_f64 v[88:89], v[92:93], v[252:253]
	v_fmac_f64_e32 v[176:177], v[90:91], v[252:253]
	v_fma_f64 v[178:179], v[90:91], v[254:255], -v[88:89]
	buffer_load_dword v90, off, s[60:63], 0 offset:604 ; 4-byte Folded Reload
	buffer_load_dword v91, off, s[60:63], 0 offset:608 ; 4-byte Folded Reload
	;; [unrolled: 1-line block ×4, first 2 shown]
	s_waitcnt vmcnt(0)
	v_mul_f64 v[162:163], v[92:93], v[242:243]
	v_mul_f64 v[88:89], v[92:93], v[240:241]
	v_fmac_f64_e32 v[162:163], v[90:91], v[240:241]
	v_fma_f64 v[168:169], v[90:91], v[242:243], -v[88:89]
	buffer_load_dword v90, off, s[60:63], 0 offset:588 ; 4-byte Folded Reload
	buffer_load_dword v91, off, s[60:63], 0 offset:592 ; 4-byte Folded Reload
	;; [unrolled: 1-line block ×4, first 2 shown]
	s_waitcnt vmcnt(0)
	v_mul_f64 v[152:153], v[92:93], v[230:231]
	v_mul_f64 v[88:89], v[92:93], v[228:229]
	v_fmac_f64_e32 v[152:153], v[90:91], v[228:229]
	v_fma_f64 v[154:155], v[90:91], v[230:231], -v[88:89]
	buffer_load_dword v90, off, s[60:63], 0 offset:572 ; 4-byte Folded Reload
	buffer_load_dword v91, off, s[60:63], 0 offset:576 ; 4-byte Folded Reload
	;; [unrolled: 1-line block ×4, first 2 shown]
	s_waitcnt lgkmcnt(0)
	; wave barrier
	s_waitcnt vmcnt(0) lgkmcnt(0)
	v_mul_f64 v[144:145], v[92:93], v[206:207]
	v_mul_f64 v[88:89], v[92:93], v[204:205]
	v_fmac_f64_e32 v[144:145], v[90:91], v[204:205]
	v_fma_f64 v[146:147], v[90:91], v[206:207], -v[88:89]
	v_accvgpr_read_b32 v90, a242
	v_accvgpr_read_b32 v92, a244
	;; [unrolled: 1-line block ×4, first 2 shown]
	v_mul_f64 v[136:137], v[92:93], v[190:191]
	v_mul_f64 v[88:89], v[92:93], v[188:189]
	v_fmac_f64_e32 v[136:137], v[90:91], v[188:189]
	v_fma_f64 v[138:139], v[90:91], v[190:191], -v[88:89]
	v_accvgpr_read_b32 v90, a234
	v_add_u32_e32 v88, 0x220, v210
	v_accvgpr_read_b32 v92, a236
	v_accvgpr_read_b32 v93, a237
	v_accvgpr_write_b32 a20, v88
	v_accvgpr_read_b32 v91, a235
	v_mul_f64 v[128:129], v[92:93], v[166:167]
	v_mul_f64 v[88:89], v[92:93], v[164:165]
	v_fmac_f64_e32 v[128:129], v[90:91], v[164:165]
	v_fma_f64 v[130:131], v[90:91], v[166:167], -v[88:89]
	v_accvgpr_read_b32 v90, a230
	v_accvgpr_read_b32 v92, a232
	;; [unrolled: 1-line block ×4, first 2 shown]
	v_mul_f64 v[88:89], v[92:93], v[156:157]
	v_mul_f64 v[96:97], v[92:93], v[158:159]
	v_fma_f64 v[98:99], v[90:91], v[158:159], -v[88:89]
	v_mul_f64 v[92:93], v[122:123], v[126:127]
	v_mul_f64 v[88:89], v[122:123], v[124:125]
	v_fmac_f64_e32 v[92:93], v[120:121], v[124:125]
	v_fma_f64 v[94:95], v[120:121], v[126:127], -v[88:89]
	v_accvgpr_read_b32 v123, a99
	v_accvgpr_read_b32 v122, a98
	v_accvgpr_read_b32 v121, a97
	v_accvgpr_read_b32 v120, a96
	v_mul_f64 v[244:245], v[122:123], v[118:119]
	v_mul_f64 v[88:89], v[122:123], v[116:117]
	v_fmac_f64_e32 v[244:245], v[120:121], v[116:117]
	v_fma_f64 v[246:247], v[120:121], v[118:119], -v[88:89]
	v_accvgpr_read_b32 v116, a208
	v_accvgpr_read_b32 v118, a210
	v_accvgpr_read_b32 v119, a211
	v_accvgpr_read_b32 v117, a209
	;; [unrolled: 8-line block ×4, first 2 shown]
	v_mul_f64 v[88:89], v[110:111], v[104:105]
	v_fmac_f64_e32 v[96:97], v[90:91], v[156:157]
	v_fma_f64 v[142:143], v[108:109], v[106:107], -v[88:89]
	v_accvgpr_read_b32 v91, a47
	v_accvgpr_read_b32 v90, a46
	v_accvgpr_read_b32 v89, a45
	v_accvgpr_read_b32 v88, a44
	v_mul_f64 v[148:149], v[90:91], v[86:87]
	v_fmac_f64_e32 v[148:149], v[88:89], v[84:85]
	v_mul_f64 v[84:85], v[90:91], v[84:85]
	v_fma_f64 v[150:151], v[88:89], v[86:87], -v[84:85]
	v_accvgpr_read_b32 v84, a92
	v_accvgpr_read_b32 v86, a94
	v_accvgpr_read_b32 v87, a95
	v_accvgpr_read_b32 v85, a93
	v_mul_f64 v[160:161], v[86:87], v[70:71]
	v_fmac_f64_e32 v[160:161], v[84:85], v[68:69]
	v_mul_f64 v[68:69], v[86:87], v[68:69]
	v_fma_f64 v[68:69], v[84:85], v[70:71], -v[68:69]
	v_accvgpr_read_b32 v87, a43
	v_accvgpr_read_b32 v86, a42
	v_accvgpr_read_b32 v85, a41
	v_accvgpr_read_b32 v84, a40
	v_mul_f64 v[70:71], v[86:87], v[62:63]
	v_fmac_f64_e32 v[70:71], v[84:85], v[60:61]
	v_mul_f64 v[60:61], v[86:87], v[60:61]
	v_fma_f64 v[60:61], v[84:85], v[62:63], -v[60:61]
	v_accvgpr_read_b32 v87, a3
	v_accvgpr_read_b32 v86, a2
	v_accvgpr_read_b32 v85, a1
	v_accvgpr_read_b32 v84, a0
	v_mul_f64 v[62:63], v[86:87], v[54:55]
	v_fmac_f64_e32 v[62:63], v[84:85], v[52:53]
	v_mul_f64 v[52:53], v[86:87], v[52:53]
	v_fma_f64 v[52:53], v[84:85], v[54:55], -v[52:53]
	v_accvgpr_read_b32 v87, a63
	v_accvgpr_read_b32 v86, a62
	v_accvgpr_read_b32 v85, a61
	v_accvgpr_read_b32 v84, a60
	v_mul_f64 v[252:253], v[86:87], v[102:103]
	v_mul_f64 v[54:55], v[86:87], v[100:101]
	v_fmac_f64_e32 v[252:253], v[84:85], v[100:101]
	v_fma_f64 v[254:255], v[84:85], v[102:103], -v[54:55]
	v_accvgpr_read_b32 v87, a33
	v_accvgpr_read_b32 v86, a32
	v_accvgpr_read_b32 v85, a31
	v_accvgpr_read_b32 v84, a30
	v_mul_f64 v[228:229], v[86:87], v[82:83]
	v_mul_f64 v[54:55], v[86:87], v[80:81]
	v_fmac_f64_e32 v[228:229], v[84:85], v[80:81]
	;; [unrolled: 8-line block ×5, first 2 shown]
	v_fma_f64 v[118:119], v[64:65], v[58:59], -v[54:55]
	v_accvgpr_read_b32 v57, a29
	v_mul_f64 v[140:141], v[110:111], v[106:107]
	v_accvgpr_read_b32 v56, a28
	v_fmac_f64_e32 v[140:141], v[108:109], v[104:105]
	v_accvgpr_read_b32 v55, a27
	v_accvgpr_read_b32 v54, a26
	v_mul_f64 v[108:109], v[56:57], v[50:51]
	v_fmac_f64_e32 v[108:109], v[54:55], v[48:49]
	v_mul_f64 v[48:49], v[56:57], v[48:49]
	v_fma_f64 v[110:111], v[54:55], v[50:51], -v[48:49]
	v_accvgpr_read_b32 v48, a68
	v_accvgpr_read_b32 v50, a70
	v_accvgpr_read_b32 v51, a71
	v_accvgpr_read_b32 v49, a69
	v_mul_f64 v[100:101], v[50:51], v[46:47]
	v_fmac_f64_e32 v[100:101], v[48:49], v[44:45]
	v_mul_f64 v[44:45], v[50:51], v[44:45]
	v_fma_f64 v[102:103], v[48:49], v[46:47], -v[44:45]
	v_accvgpr_read_b32 v44, a88
	v_accvgpr_read_b32 v46, a90
	;; [unrolled: 8-line block ×10, first 2 shown]
	v_accvgpr_read_b32 v15, a83
	v_accvgpr_read_b32 v13, a81
	v_mul_f64 v[88:89], v[14:15], v[6:7]
	v_fmac_f64_e32 v[88:89], v[12:13], v[4:5]
	v_mul_f64 v[4:5], v[14:15], v[4:5]
	v_fma_f64 v[90:91], v[12:13], v[6:7], -v[4:5]
	v_add_f64 v[4:5], v[8:9], v[176:177]
	v_add_f64 v[6:7], v[10:11], v[178:179]
	;; [unrolled: 1-line block ×31, first 2 shown]
	v_add_f64 v[18:19], v[178:179], -v[52:53]
	v_add_f64 v[4:5], v[4:5], v[62:63]
	v_add_f64 v[6:7], v[6:7], v[52:53]
	;; [unrolled: 1-line block ×3, first 2 shown]
	v_add_f64 v[16:17], v[176:177], -v[62:63]
	v_mul_f64 v[20:21], v[18:19], s[6:7]
	v_mul_f64 v[24:25], v[14:15], s[0:1]
	;; [unrolled: 1-line block ×16, first 2 shown]
	v_fma_f64 v[22:23], s[0:1], v[12:13], v[20:21]
	v_fma_f64 v[26:27], s[30:31], v[16:17], v[24:25]
	v_fma_f64 v[20:21], v[12:13], s[0:1], -v[20:21]
	v_fmac_f64_e32 v[24:25], s[6:7], v[16:17]
	v_fma_f64 v[30:31], s[2:3], v[12:13], v[28:29]
	v_fma_f64 v[34:35], s[46:47], v[16:17], v[32:33]
	v_fma_f64 v[28:29], v[12:13], s[2:3], -v[28:29]
	v_fmac_f64_e32 v[32:33], s[14:15], v[16:17]
	;; [unrolled: 4-line block ×8, first 2 shown]
	v_add_f64 v[18:19], v[168:169], -v[60:61]
	v_add_f64 v[22:23], v[8:9], v[22:23]
	v_add_f64 v[26:27], v[10:11], v[26:27]
	;; [unrolled: 1-line block ×34, first 2 shown]
	v_mul_f64 v[60:61], v[18:19], s[14:15]
	v_add_f64 v[16:17], v[162:163], -v[70:71]
	v_fma_f64 v[70:71], s[2:3], v[12:13], v[60:61]
	v_add_f64 v[22:23], v[70:71], v[22:23]
	v_mul_f64 v[70:71], v[14:15], s[2:3]
	v_fma_f64 v[60:61], v[12:13], s[2:3], -v[60:61]
	v_fma_f64 v[162:163], s[46:47], v[16:17], v[70:71]
	v_add_f64 v[20:21], v[60:61], v[20:21]
	v_fmac_f64_e32 v[70:71], s[14:15], v[16:17]
	v_mul_f64 v[60:61], v[18:19], s[22:23]
	v_add_f64 v[24:25], v[70:71], v[24:25]
	v_fma_f64 v[70:71], s[16:17], v[12:13], v[60:61]
	v_add_f64 v[30:31], v[70:71], v[30:31]
	v_mul_f64 v[70:71], v[14:15], s[16:17]
	v_fma_f64 v[60:61], v[12:13], s[16:17], -v[60:61]
	v_add_f64 v[26:27], v[162:163], v[26:27]
	v_fma_f64 v[162:163], s[54:55], v[16:17], v[70:71]
	v_add_f64 v[28:29], v[60:61], v[28:29]
	v_fmac_f64_e32 v[70:71], s[22:23], v[16:17]
	v_mul_f64 v[60:61], v[18:19], s[34:35]
	v_add_f64 v[32:33], v[70:71], v[32:33]
	v_fma_f64 v[70:71], s[24:25], v[12:13], v[60:61]
	v_add_f64 v[38:39], v[70:71], v[38:39]
	v_mul_f64 v[70:71], v[14:15], s[24:25]
	v_fma_f64 v[60:61], v[12:13], s[24:25], -v[60:61]
	v_add_f64 v[34:35], v[162:163], v[34:35]
	;; [unrolled: 10-line block ×4, first 2 shown]
	v_fma_f64 v[162:163], s[38:39], v[16:17], v[70:71]
	v_add_f64 v[52:53], v[60:61], v[52:53]
	v_fmac_f64_e32 v[70:71], s[48:49], v[16:17]
	v_mul_f64 v[60:61], v[18:19], s[44:45]
	v_add_f64 v[56:57], v[70:71], v[56:57]
	v_fma_f64 v[70:71], s[20:21], v[12:13], v[60:61]
	v_add_f64 v[64:65], v[70:71], v[64:65]
	v_mul_f64 v[70:71], v[14:15], s[20:21]
	v_add_f64 v[58:59], v[162:163], v[58:59]
	v_fma_f64 v[162:163], s[26:27], v[16:17], v[70:71]
	v_fma_f64 v[60:61], v[12:13], s[20:21], -v[60:61]
	v_fmac_f64_e32 v[70:71], s[44:45], v[16:17]
	v_add_f64 v[72:73], v[162:163], v[72:73]
	v_add_f64 v[60:61], v[60:61], v[62:63]
	;; [unrolled: 1-line block ×3, first 2 shown]
	v_mul_f64 v[66:67], v[18:19], s[40:41]
	v_mul_f64 v[162:163], v[14:15], s[12:13]
	v_fma_f64 v[70:71], s[12:13], v[12:13], v[66:67]
	v_fma_f64 v[168:169], s[18:19], v[16:17], v[162:163]
	v_fma_f64 v[66:67], v[12:13], s[12:13], -v[66:67]
	v_fmac_f64_e32 v[162:163], s[40:41], v[16:17]
	v_mul_f64 v[18:19], v[18:19], s[30:31]
	v_mul_f64 v[14:15], v[14:15], s[0:1]
	v_add_f64 v[168:169], v[168:169], v[172:173]
	v_add_f64 v[66:67], v[66:67], v[74:75]
	;; [unrolled: 1-line block ×3, first 2 shown]
	v_fma_f64 v[162:163], s[0:1], v[12:13], v[18:19]
	v_fma_f64 v[172:173], s[6:7], v[16:17], v[14:15]
	v_fma_f64 v[12:13], v[12:13], s[0:1], -v[18:19]
	v_fmac_f64_e32 v[14:15], s[30:31], v[16:17]
	v_add_f64 v[18:19], v[154:155], -v[68:69]
	v_add_f64 v[8:9], v[12:13], v[8:9]
	v_add_f64 v[10:11], v[14:15], v[10:11]
	;; [unrolled: 1-line block ×4, first 2 shown]
	v_mul_f64 v[68:69], v[18:19], s[18:19]
	v_add_f64 v[16:17], v[152:153], -v[160:161]
	v_fma_f64 v[152:153], s[12:13], v[12:13], v[68:69]
	v_add_f64 v[22:23], v[152:153], v[22:23]
	v_mul_f64 v[152:153], v[14:15], s[12:13]
	v_fma_f64 v[68:69], v[12:13], s[12:13], -v[68:69]
	v_fma_f64 v[154:155], s[40:41], v[16:17], v[152:153]
	v_add_f64 v[20:21], v[68:69], v[20:21]
	v_fmac_f64_e32 v[152:153], s[18:19], v[16:17]
	v_mul_f64 v[68:69], v[18:19], s[34:35]
	v_add_f64 v[24:25], v[152:153], v[24:25]
	v_fma_f64 v[152:153], s[24:25], v[12:13], v[68:69]
	v_add_f64 v[30:31], v[152:153], v[30:31]
	v_mul_f64 v[152:153], v[14:15], s[24:25]
	v_fma_f64 v[68:69], v[12:13], s[24:25], -v[68:69]
	v_add_f64 v[26:27], v[154:155], v[26:27]
	v_fma_f64 v[154:155], s[52:53], v[16:17], v[152:153]
	v_add_f64 v[28:29], v[68:69], v[28:29]
	v_fmac_f64_e32 v[152:153], s[34:35], v[16:17]
	v_mul_f64 v[68:69], v[18:19], s[50:51]
	v_add_f64 v[32:33], v[152:153], v[32:33]
	v_fma_f64 v[152:153], s[36:37], v[12:13], v[68:69]
	v_add_f64 v[38:39], v[152:153], v[38:39]
	v_mul_f64 v[152:153], v[14:15], s[36:37]
	v_fma_f64 v[68:69], v[12:13], s[36:37], -v[68:69]
	v_add_f64 v[34:35], v[154:155], v[34:35]
	v_fma_f64 v[154:155], s[42:43], v[16:17], v[152:153]
	v_add_f64 v[36:37], v[68:69], v[36:37]
	v_fmac_f64_e32 v[152:153], s[50:51], v[16:17]
	v_mul_f64 v[68:69], v[18:19], s[44:45]
	v_add_f64 v[40:41], v[152:153], v[40:41]
	v_fma_f64 v[152:153], s[20:21], v[12:13], v[68:69]
	v_add_f64 v[46:47], v[152:153], v[46:47]
	v_mul_f64 v[152:153], v[14:15], s[20:21]
	v_fma_f64 v[68:69], v[12:13], s[20:21], -v[68:69]
	v_add_f64 v[42:43], v[154:155], v[42:43]
	v_fma_f64 v[154:155], s[26:27], v[16:17], v[152:153]
	v_add_f64 v[44:45], v[68:69], v[44:45]
	v_fmac_f64_e32 v[152:153], s[44:45], v[16:17]
	v_mul_f64 v[68:69], v[18:19], s[46:47]
	v_add_f64 v[48:49], v[152:153], v[48:49]
	v_fma_f64 v[152:153], s[2:3], v[12:13], v[68:69]
	v_add_f64 v[54:55], v[152:153], v[54:55]
	v_mul_f64 v[152:153], v[14:15], s[2:3]
	v_fma_f64 v[68:69], v[12:13], s[2:3], -v[68:69]
	v_add_f64 v[50:51], v[154:155], v[50:51]
	v_fma_f64 v[154:155], s[14:15], v[16:17], v[152:153]
	v_add_f64 v[52:53], v[68:69], v[52:53]
	v_fmac_f64_e32 v[152:153], s[46:47], v[16:17]
	v_mul_f64 v[68:69], v[18:19], s[6:7]
	v_add_f64 v[56:57], v[152:153], v[56:57]
	v_fma_f64 v[152:153], s[0:1], v[12:13], v[68:69]
	v_add_f64 v[64:65], v[152:153], v[64:65]
	v_mul_f64 v[152:153], v[14:15], s[0:1]
	v_fma_f64 v[68:69], v[12:13], s[0:1], -v[68:69]
	v_add_f64 v[58:59], v[154:155], v[58:59]
	v_fma_f64 v[154:155], s[30:31], v[16:17], v[152:153]
	v_add_f64 v[60:61], v[68:69], v[60:61]
	v_fmac_f64_e32 v[152:153], s[6:7], v[16:17]
	v_mul_f64 v[68:69], v[18:19], s[22:23]
	v_add_f64 v[70:71], v[70:71], v[176:177]
	v_add_f64 v[62:63], v[152:153], v[62:63]
	v_fma_f64 v[152:153], s[16:17], v[12:13], v[68:69]
	v_add_f64 v[70:71], v[152:153], v[70:71]
	v_mul_f64 v[152:153], v[14:15], s[16:17]
	v_add_f64 v[72:73], v[154:155], v[72:73]
	v_fma_f64 v[154:155], s[54:55], v[16:17], v[152:153]
	v_fma_f64 v[68:69], v[12:13], s[16:17], -v[68:69]
	v_fmac_f64_e32 v[152:153], s[22:23], v[16:17]
	v_mul_f64 v[18:19], v[18:19], s[38:39]
	v_add_f64 v[66:67], v[68:69], v[66:67]
	v_add_f64 v[68:69], v[152:153], v[74:75]
	v_fma_f64 v[74:75], s[28:29], v[12:13], v[18:19]
	v_mul_f64 v[14:15], v[14:15], s[28:29]
	v_fma_f64 v[12:13], v[12:13], s[28:29], -v[18:19]
	v_add_f64 v[18:19], v[146:147], -v[150:151]
	v_fma_f64 v[152:153], s[48:49], v[16:17], v[14:15]
	v_add_f64 v[8:9], v[12:13], v[8:9]
	v_fmac_f64_e32 v[14:15], s[38:39], v[16:17]
	v_add_f64 v[12:13], v[144:145], v[148:149]
	v_add_f64 v[16:17], v[144:145], -v[148:149]
	v_mul_f64 v[144:145], v[18:19], s[22:23]
	v_add_f64 v[10:11], v[14:15], v[10:11]
	v_add_f64 v[14:15], v[146:147], v[150:151]
	v_fma_f64 v[146:147], s[16:17], v[12:13], v[144:145]
	v_add_f64 v[22:23], v[146:147], v[22:23]
	v_mul_f64 v[146:147], v[14:15], s[16:17]
	v_fma_f64 v[144:145], v[12:13], s[16:17], -v[144:145]
	v_fma_f64 v[148:149], s[54:55], v[16:17], v[146:147]
	v_add_f64 v[20:21], v[144:145], v[20:21]
	v_fmac_f64_e32 v[146:147], s[22:23], v[16:17]
	v_mul_f64 v[144:145], v[18:19], s[42:43]
	v_add_f64 v[24:25], v[146:147], v[24:25]
	v_fma_f64 v[146:147], s[36:37], v[12:13], v[144:145]
	v_add_f64 v[30:31], v[146:147], v[30:31]
	v_mul_f64 v[146:147], v[14:15], s[36:37]
	v_fma_f64 v[144:145], v[12:13], s[36:37], -v[144:145]
	v_add_f64 v[26:27], v[148:149], v[26:27]
	v_fma_f64 v[148:149], s[50:51], v[16:17], v[146:147]
	v_add_f64 v[28:29], v[144:145], v[28:29]
	v_fmac_f64_e32 v[146:147], s[42:43], v[16:17]
	v_mul_f64 v[144:145], v[18:19], s[44:45]
	v_add_f64 v[32:33], v[146:147], v[32:33]
	v_fma_f64 v[146:147], s[20:21], v[12:13], v[144:145]
	v_add_f64 v[38:39], v[146:147], v[38:39]
	v_mul_f64 v[146:147], v[14:15], s[20:21]
	v_fma_f64 v[144:145], v[12:13], s[20:21], -v[144:145]
	v_add_f64 v[34:35], v[148:149], v[34:35]
	;; [unrolled: 10-line block ×5, first 2 shown]
	v_fma_f64 v[148:149], s[48:49], v[16:17], v[146:147]
	v_add_f64 v[60:61], v[144:145], v[60:61]
	v_fmac_f64_e32 v[146:147], s[38:39], v[16:17]
	v_mul_f64 v[144:145], v[18:19], s[52:53]
	v_add_f64 v[162:163], v[162:163], v[174:175]
	v_add_f64 v[62:63], v[146:147], v[62:63]
	v_fma_f64 v[146:147], s[24:25], v[12:13], v[144:145]
	v_fma_f64 v[144:145], v[12:13], s[24:25], -v[144:145]
	v_mul_f64 v[18:19], v[18:19], s[46:47]
	v_add_f64 v[74:75], v[74:75], v[162:163]
	v_add_f64 v[70:71], v[146:147], v[70:71]
	v_mul_f64 v[146:147], v[14:15], s[24:25]
	v_add_f64 v[66:67], v[144:145], v[66:67]
	v_fma_f64 v[144:145], s[2:3], v[12:13], v[18:19]
	v_mul_f64 v[14:15], v[14:15], s[2:3]
	v_fma_f64 v[12:13], v[12:13], s[2:3], -v[18:19]
	v_add_f64 v[18:19], v[138:139], -v[142:143]
	v_add_f64 v[72:73], v[148:149], v[72:73]
	v_fma_f64 v[148:149], s[34:35], v[16:17], v[146:147]
	v_fmac_f64_e32 v[146:147], s[52:53], v[16:17]
	v_add_f64 v[74:75], v[144:145], v[74:75]
	v_fma_f64 v[144:145], s[14:15], v[16:17], v[14:15]
	v_add_f64 v[8:9], v[12:13], v[8:9]
	v_fmac_f64_e32 v[14:15], s[46:47], v[16:17]
	v_add_f64 v[12:13], v[136:137], v[140:141]
	v_add_f64 v[16:17], v[136:137], -v[140:141]
	v_mul_f64 v[136:137], v[18:19], s[26:27]
	v_add_f64 v[10:11], v[14:15], v[10:11]
	v_add_f64 v[14:15], v[138:139], v[142:143]
	v_fma_f64 v[138:139], s[20:21], v[12:13], v[136:137]
	v_add_f64 v[22:23], v[138:139], v[22:23]
	v_mul_f64 v[138:139], v[14:15], s[20:21]
	v_fma_f64 v[136:137], v[12:13], s[20:21], -v[136:137]
	v_fma_f64 v[140:141], s[44:45], v[16:17], v[138:139]
	v_add_f64 v[20:21], v[136:137], v[20:21]
	v_fmac_f64_e32 v[138:139], s[26:27], v[16:17]
	v_mul_f64 v[136:137], v[18:19], s[48:49]
	v_add_f64 v[24:25], v[138:139], v[24:25]
	v_fma_f64 v[138:139], s[28:29], v[12:13], v[136:137]
	v_add_f64 v[30:31], v[138:139], v[30:31]
	v_mul_f64 v[138:139], v[14:15], s[28:29]
	v_fma_f64 v[136:137], v[12:13], s[28:29], -v[136:137]
	v_add_f64 v[26:27], v[140:141], v[26:27]
	v_fma_f64 v[140:141], s[38:39], v[16:17], v[138:139]
	v_add_f64 v[28:29], v[136:137], v[28:29]
	v_fmac_f64_e32 v[138:139], s[48:49], v[16:17]
	v_mul_f64 v[136:137], v[18:19], s[46:47]
	v_add_f64 v[32:33], v[138:139], v[32:33]
	v_fma_f64 v[138:139], s[2:3], v[12:13], v[136:137]
	v_add_f64 v[38:39], v[138:139], v[38:39]
	v_mul_f64 v[138:139], v[14:15], s[2:3]
	v_fma_f64 v[136:137], v[12:13], s[2:3], -v[136:137]
	v_add_f64 v[34:35], v[140:141], v[34:35]
	;; [unrolled: 10-line block ×5, first 2 shown]
	v_fma_f64 v[140:141], s[22:23], v[16:17], v[138:139]
	v_add_f64 v[60:61], v[136:137], v[60:61]
	v_fmac_f64_e32 v[138:139], s[54:55], v[16:17]
	v_mul_f64 v[136:137], v[18:19], s[6:7]
	v_add_f64 v[62:63], v[138:139], v[62:63]
	v_fma_f64 v[138:139], s[0:1], v[12:13], v[136:137]
	v_fma_f64 v[136:137], v[12:13], s[0:1], -v[136:137]
	v_mul_f64 v[18:19], v[18:19], s[34:35]
	v_add_f64 v[70:71], v[138:139], v[70:71]
	v_mul_f64 v[138:139], v[14:15], s[0:1]
	v_add_f64 v[66:67], v[136:137], v[66:67]
	v_fma_f64 v[136:137], s[24:25], v[12:13], v[18:19]
	v_mul_f64 v[14:15], v[14:15], s[24:25]
	v_fma_f64 v[12:13], v[12:13], s[24:25], -v[18:19]
	v_add_f64 v[18:19], v[130:131], -v[134:135]
	v_add_f64 v[72:73], v[140:141], v[72:73]
	v_fma_f64 v[140:141], s[30:31], v[16:17], v[138:139]
	v_fmac_f64_e32 v[138:139], s[6:7], v[16:17]
	v_add_f64 v[74:75], v[136:137], v[74:75]
	v_fma_f64 v[136:137], s[52:53], v[16:17], v[14:15]
	v_add_f64 v[8:9], v[12:13], v[8:9]
	v_fmac_f64_e32 v[14:15], s[34:35], v[16:17]
	v_add_f64 v[12:13], v[128:129], v[132:133]
	v_add_f64 v[16:17], v[128:129], -v[132:133]
	v_mul_f64 v[128:129], v[18:19], s[34:35]
	v_add_f64 v[10:11], v[14:15], v[10:11]
	v_add_f64 v[14:15], v[130:131], v[134:135]
	v_fma_f64 v[130:131], s[24:25], v[12:13], v[128:129]
	v_add_f64 v[22:23], v[130:131], v[22:23]
	v_mul_f64 v[130:131], v[14:15], s[24:25]
	v_fma_f64 v[128:129], v[12:13], s[24:25], -v[128:129]
	v_fma_f64 v[132:133], s[52:53], v[16:17], v[130:131]
	v_add_f64 v[20:21], v[128:129], v[20:21]
	v_fmac_f64_e32 v[130:131], s[34:35], v[16:17]
	v_mul_f64 v[128:129], v[18:19], s[44:45]
	v_add_f64 v[24:25], v[130:131], v[24:25]
	v_fma_f64 v[130:131], s[20:21], v[12:13], v[128:129]
	v_add_f64 v[30:31], v[130:131], v[30:31]
	v_mul_f64 v[130:131], v[14:15], s[20:21]
	v_fma_f64 v[128:129], v[12:13], s[20:21], -v[128:129]
	v_add_f64 v[26:27], v[132:133], v[26:27]
	v_fma_f64 v[132:133], s[26:27], v[16:17], v[130:131]
	v_add_f64 v[28:29], v[128:129], v[28:29]
	v_fmac_f64_e32 v[130:131], s[44:45], v[16:17]
	v_mul_f64 v[128:129], v[18:19], s[6:7]
	v_add_f64 v[32:33], v[130:131], v[32:33]
	v_fma_f64 v[130:131], s[0:1], v[12:13], v[128:129]
	v_add_f64 v[38:39], v[130:131], v[38:39]
	v_mul_f64 v[130:131], v[14:15], s[0:1]
	v_fma_f64 v[128:129], v[12:13], s[0:1], -v[128:129]
	v_add_f64 v[34:35], v[132:133], v[34:35]
	;; [unrolled: 10-line block ×5, first 2 shown]
	v_fma_f64 v[132:133], s[46:47], v[16:17], v[130:131]
	v_add_f64 v[60:61], v[128:129], v[60:61]
	v_fmac_f64_e32 v[130:131], s[14:15], v[16:17]
	v_mul_f64 v[128:129], v[18:19], s[42:43]
	v_add_f64 v[62:63], v[130:131], v[62:63]
	v_fma_f64 v[130:131], s[36:37], v[12:13], v[128:129]
	v_fma_f64 v[128:129], v[12:13], s[36:37], -v[128:129]
	v_mul_f64 v[18:19], v[18:19], s[40:41]
	v_add_f64 v[70:71], v[130:131], v[70:71]
	v_mul_f64 v[130:131], v[14:15], s[36:37]
	v_add_f64 v[66:67], v[128:129], v[66:67]
	v_fma_f64 v[128:129], s[12:13], v[12:13], v[18:19]
	v_mul_f64 v[14:15], v[14:15], s[12:13]
	v_fma_f64 v[12:13], v[12:13], s[12:13], -v[18:19]
	v_add_f64 v[18:19], v[98:99], -v[122:123]
	v_add_f64 v[72:73], v[132:133], v[72:73]
	v_fma_f64 v[132:133], s[50:51], v[16:17], v[130:131]
	v_fmac_f64_e32 v[130:131], s[42:43], v[16:17]
	v_add_f64 v[74:75], v[128:129], v[74:75]
	v_fma_f64 v[128:129], s[18:19], v[16:17], v[14:15]
	v_add_f64 v[8:9], v[12:13], v[8:9]
	v_fmac_f64_e32 v[14:15], s[40:41], v[16:17]
	v_add_f64 v[12:13], v[96:97], v[120:121]
	v_add_f64 v[16:17], v[96:97], -v[120:121]
	v_mul_f64 v[96:97], v[18:19], s[38:39]
	v_add_f64 v[10:11], v[14:15], v[10:11]
	v_add_f64 v[14:15], v[98:99], v[122:123]
	v_fma_f64 v[98:99], s[28:29], v[12:13], v[96:97]
	v_add_f64 v[22:23], v[98:99], v[22:23]
	v_mul_f64 v[98:99], v[14:15], s[28:29]
	v_fma_f64 v[96:97], v[12:13], s[28:29], -v[96:97]
	v_fma_f64 v[120:121], s[48:49], v[16:17], v[98:99]
	v_add_f64 v[96:97], v[96:97], v[20:21]
	v_fmac_f64_e32 v[98:99], s[38:39], v[16:17]
	v_mul_f64 v[20:21], v[18:19], s[40:41]
	v_add_f64 v[24:25], v[98:99], v[24:25]
	v_fma_f64 v[98:99], s[12:13], v[12:13], v[20:21]
	v_add_f64 v[30:31], v[98:99], v[30:31]
	v_mul_f64 v[98:99], v[14:15], s[12:13]
	v_add_f64 v[26:27], v[120:121], v[26:27]
	v_fma_f64 v[120:121], s[18:19], v[16:17], v[98:99]
	v_fma_f64 v[20:21], v[12:13], s[12:13], -v[20:21]
	v_add_f64 v[34:35], v[120:121], v[34:35]
	v_add_f64 v[120:121], v[20:21], v[28:29]
	v_mul_f64 v[20:21], v[18:19], s[22:23]
	v_fma_f64 v[28:29], s[16:17], v[12:13], v[20:21]
	v_fmac_f64_e32 v[98:99], s[40:41], v[16:17]
	v_add_f64 v[38:39], v[28:29], v[38:39]
	v_mul_f64 v[28:29], v[14:15], s[16:17]
	v_fma_f64 v[20:21], v[12:13], s[16:17], -v[20:21]
	v_add_f64 v[32:33], v[98:99], v[32:33]
	v_fma_f64 v[98:99], s[54:55], v[16:17], v[28:29]
	v_add_f64 v[36:37], v[20:21], v[36:37]
	v_fmac_f64_e32 v[28:29], s[22:23], v[16:17]
	v_mul_f64 v[20:21], v[18:19], s[52:53]
	v_add_f64 v[40:41], v[28:29], v[40:41]
	v_fma_f64 v[28:29], s[24:25], v[12:13], v[20:21]
	v_add_f64 v[46:47], v[28:29], v[46:47]
	v_mul_f64 v[28:29], v[14:15], s[24:25]
	v_fma_f64 v[20:21], v[12:13], s[24:25], -v[20:21]
	v_add_f64 v[42:43], v[98:99], v[42:43]
	v_fma_f64 v[98:99], s[34:35], v[16:17], v[28:29]
	v_add_f64 v[44:45], v[20:21], v[44:45]
	v_fmac_f64_e32 v[28:29], s[52:53], v[16:17]
	v_mul_f64 v[20:21], v[18:19], s[6:7]
	v_add_f64 v[48:49], v[28:29], v[48:49]
	v_fma_f64 v[28:29], s[0:1], v[12:13], v[20:21]
	;; [unrolled: 10-line block ×3, first 2 shown]
	v_add_f64 v[172:173], v[172:173], v[184:185]
	v_add_f64 v[64:65], v[28:29], v[64:65]
	v_mul_f64 v[28:29], v[14:15], s[36:37]
	v_fma_f64 v[20:21], v[12:13], s[36:37], -v[20:21]
	v_add_f64 v[154:155], v[154:155], v[168:169]
	v_add_f64 v[152:153], v[152:153], v[172:173]
	;; [unrolled: 1-line block ×3, first 2 shown]
	v_fma_f64 v[98:99], s[50:51], v[16:17], v[28:29]
	v_add_f64 v[60:61], v[20:21], v[60:61]
	v_fmac_f64_e32 v[28:29], s[42:43], v[16:17]
	v_mul_f64 v[20:21], v[18:19], s[46:47]
	v_add_f64 v[148:149], v[148:149], v[154:155]
	v_add_f64 v[144:145], v[144:145], v[152:153]
	;; [unrolled: 1-line block ×3, first 2 shown]
	v_fma_f64 v[28:29], s[2:3], v[12:13], v[20:21]
	v_fma_f64 v[20:21], v[12:13], s[2:3], -v[20:21]
	v_mul_f64 v[18:19], v[18:19], s[26:27]
	v_add_f64 v[140:141], v[140:141], v[148:149]
	v_add_f64 v[136:137], v[136:137], v[144:145]
	;; [unrolled: 1-line block ×3, first 2 shown]
	v_mul_f64 v[28:29], v[14:15], s[2:3]
	v_add_f64 v[66:67], v[20:21], v[66:67]
	v_fma_f64 v[20:21], s[20:21], v[12:13], v[18:19]
	v_mul_f64 v[14:15], v[14:15], s[20:21]
	v_add_f64 v[68:69], v[146:147], v[68:69]
	v_add_f64 v[132:133], v[132:133], v[140:141]
	;; [unrolled: 1-line block ×4, first 2 shown]
	v_fma_f64 v[98:99], s[14:15], v[16:17], v[28:29]
	v_add_f64 v[74:75], v[20:21], v[74:75]
	v_fma_f64 v[20:21], s[44:45], v[16:17], v[14:15]
	v_fma_f64 v[12:13], v[12:13], s[20:21], -v[18:19]
	v_add_f64 v[134:135], v[94:95], v[246:247]
	v_add_f64 v[94:95], v[94:95], -v[246:247]
	v_add_f64 v[68:69], v[138:139], v[68:69]
	v_add_f64 v[98:99], v[98:99], v[132:133]
	;; [unrolled: 1-line block ×4, first 2 shown]
	v_fmac_f64_e32 v[14:15], s[26:27], v[16:17]
	v_add_f64 v[132:133], v[92:93], v[244:245]
	v_mul_f64 v[8:9], v[94:95], s[42:43]
	v_add_f64 v[68:69], v[130:131], v[68:69]
	v_add_f64 v[130:131], v[14:15], v[10:11]
	v_fma_f64 v[10:11], s[36:37], v[132:133], v[8:9]
	v_add_f64 v[92:93], v[92:93], -v[244:245]
	v_add_f64 v[20:21], v[10:11], v[22:23]
	v_mul_f64 v[10:11], v[134:135], s[36:37]
	v_fma_f64 v[12:13], s[50:51], v[92:93], v[10:11]
	v_add_f64 v[22:23], v[12:13], v[26:27]
	v_mul_f64 v[12:13], v[94:95], s[30:31]
	v_fmac_f64_e32 v[28:29], s[46:47], v[16:17]
	v_fma_f64 v[14:15], s[0:1], v[132:133], v[12:13]
	v_add_f64 v[68:69], v[28:29], v[68:69]
	v_add_f64 v[28:29], v[14:15], v[30:31]
	v_mul_f64 v[14:15], v[134:135], s[0:1]
	v_fma_f64 v[16:17], s[6:7], v[92:93], v[14:15]
	v_add_f64 v[30:31], v[16:17], v[34:35]
	v_mul_f64 v[16:17], v[94:95], s[38:39]
	v_fmac_f64_e32 v[14:15], s[30:31], v[92:93]
	v_fma_f64 v[18:19], s[28:29], v[132:133], v[16:17]
	v_fmac_f64_e32 v[10:11], s[42:43], v[92:93]
	v_add_f64 v[14:15], v[14:15], v[32:33]
	v_add_f64 v[32:33], v[18:19], v[38:39]
	v_mul_f64 v[18:19], v[134:135], s[28:29]
	v_add_f64 v[10:11], v[10:11], v[24:25]
	v_fma_f64 v[24:25], s[48:49], v[92:93], v[18:19]
	v_add_f64 v[34:35], v[24:25], v[42:43]
	v_mul_f64 v[24:25], v[94:95], s[46:47]
	v_fmac_f64_e32 v[18:19], s[38:39], v[92:93]
	v_fma_f64 v[26:27], s[2:3], v[132:133], v[24:25]
	v_fma_f64 v[16:17], v[132:133], s[28:29], -v[16:17]
	v_add_f64 v[18:19], v[18:19], v[40:41]
	v_add_f64 v[40:41], v[26:27], v[46:47]
	v_mul_f64 v[26:27], v[134:135], s[2:3]
	v_add_f64 v[16:17], v[16:17], v[36:37]
	v_fma_f64 v[36:37], s[14:15], v[92:93], v[26:27]
	v_add_f64 v[42:43], v[36:37], v[50:51]
	v_mul_f64 v[36:37], v[94:95], s[34:35]
	v_fmac_f64_e32 v[26:27], s[46:47], v[92:93]
	v_fma_f64 v[38:39], s[24:25], v[132:133], v[36:37]
	v_fma_f64 v[24:25], v[132:133], s[2:3], -v[24:25]
	v_add_f64 v[26:27], v[26:27], v[48:49]
	v_add_f64 v[48:49], v[38:39], v[54:55]
	v_mul_f64 v[38:39], v[134:135], s[24:25]
	v_add_f64 v[24:25], v[24:25], v[44:45]
	v_fma_f64 v[44:45], s[52:53], v[92:93], v[38:39]
	v_add_f64 v[50:51], v[44:45], v[58:59]
	v_fmac_f64_e32 v[38:39], s[34:35], v[92:93]
	v_mul_f64 v[44:45], v[94:95], s[40:41]
	v_fma_f64 v[36:37], v[132:133], s[24:25], -v[36:37]
	v_add_f64 v[38:39], v[38:39], v[56:57]
	v_fma_f64 v[46:47], s[12:13], v[132:133], v[44:45]
	v_mul_f64 v[56:57], v[94:95], s[26:27]
	v_add_f64 v[36:37], v[36:37], v[52:53]
	v_add_f64 v[52:53], v[46:47], v[64:65]
	v_mul_f64 v[46:47], v[134:135], s[12:13]
	v_fma_f64 v[44:45], v[132:133], s[12:13], -v[44:45]
	v_fma_f64 v[58:59], s[20:21], v[132:133], v[56:57]
	v_fma_f64 v[54:55], s[18:19], v[92:93], v[46:47]
	v_add_f64 v[44:45], v[44:45], v[60:61]
	v_fmac_f64_e32 v[46:47], s[40:41], v[92:93]
	v_add_f64 v[60:61], v[58:59], v[70:71]
	v_mul_f64 v[58:59], v[134:135], s[20:21]
	v_add_f64 v[46:47], v[46:47], v[62:63]
	v_fma_f64 v[62:63], s[44:45], v[92:93], v[58:59]
	v_fmac_f64_e32 v[58:59], s[26:27], v[92:93]
	v_add_f64 v[58:59], v[58:59], v[68:69]
	v_mul_f64 v[68:69], v[94:95], s[54:55]
	v_fma_f64 v[56:57], v[132:133], s[20:21], -v[56:57]
	v_fma_f64 v[64:65], s[16:17], v[132:133], v[68:69]
	v_mul_f64 v[70:71], v[134:135], s[16:17]
	v_fma_f64 v[68:69], v[132:133], s[16:17], -v[68:69]
	v_add_f64 v[54:55], v[54:55], v[72:73]
	v_add_f64 v[56:57], v[56:57], v[66:67]
	v_fma_f64 v[66:67], s[22:23], v[92:93], v[70:71]
	v_add_f64 v[72:73], v[68:69], v[128:129]
	v_fmac_f64_e32 v[70:71], s[54:55], v[92:93]
	v_add_f64 v[68:69], v[0:1], v[252:253]
	v_add_f64 v[64:65], v[64:65], v[74:75]
	;; [unrolled: 1-line block ×29, first 2 shown]
	v_fma_f64 v[12:13], v[132:133], s[0:1], -v[12:13]
	v_add_f64 v[70:71], v[70:71], v[206:207]
	v_add_f64 v[68:69], v[68:69], v[240:241]
	;; [unrolled: 1-line block ×3, first 2 shown]
	v_fma_f64 v[8:9], v[132:133], s[36:37], -v[8:9]
	v_add_f64 v[12:13], v[12:13], v[120:121]
	v_add_f64 v[70:71], v[70:71], v[242:243]
	v_add_f64 v[68:69], v[68:69], v[88:89]
	v_add_f64 v[92:93], v[252:253], v[88:89]
	v_add_f64 v[88:89], v[252:253], -v[88:89]
	v_mul_f64 v[120:121], v[94:95], s[0:1]
	v_mul_f64 v[132:133], v[94:95], s[2:3]
	;; [unrolled: 1-line block ×8, first 2 shown]
	v_add_f64 v[66:67], v[66:67], v[122:123]
	v_add_f64 v[70:71], v[70:71], v[90:91]
	v_add_f64 v[90:91], v[254:255], -v[90:91]
	v_fma_f64 v[122:123], s[30:31], v[88:89], v[120:121]
	v_fmac_f64_e32 v[120:121], s[6:7], v[88:89]
	v_fma_f64 v[134:135], s[46:47], v[88:89], v[132:133]
	v_fmac_f64_e32 v[132:133], s[14:15], v[88:89]
	;; [unrolled: 2-line block ×8, first 2 shown]
	v_add_f64 v[8:9], v[8:9], v[96:97]
	v_mul_f64 v[96:97], v[90:91], s[6:7]
	v_add_f64 v[122:123], v[2:3], v[122:123]
	v_add_f64 v[120:121], v[2:3], v[120:121]
	v_mul_f64 v[128:129], v[90:91], s[14:15]
	v_add_f64 v[134:135], v[2:3], v[134:135]
	;; [unrolled: 3-line block ×8, first 2 shown]
	v_add_f64 v[2:3], v[2:3], v[94:95]
	v_add_f64 v[94:95], v[230:231], -v[242:243]
	v_add_f64 v[62:63], v[62:63], v[98:99]
	v_fma_f64 v[98:99], s[0:1], v[92:93], v[96:97]
	v_fma_f64 v[96:97], v[92:93], s[0:1], -v[96:97]
	v_fma_f64 v[130:131], s[2:3], v[92:93], v[128:129]
	v_fma_f64 v[128:129], v[92:93], s[2:3], -v[128:129]
	;; [unrolled: 2-line block ×8, first 2 shown]
	v_add_f64 v[88:89], v[228:229], v[240:241]
	v_add_f64 v[92:93], v[228:229], -v[240:241]
	v_mul_f64 v[228:229], v[94:95], s[14:15]
	v_add_f64 v[98:99], v[0:1], v[98:99]
	v_add_f64 v[96:97], v[0:1], v[96:97]
	;; [unrolled: 1-line block ×17, first 2 shown]
	v_fma_f64 v[230:231], s[2:3], v[88:89], v[228:229]
	v_add_f64 v[98:99], v[230:231], v[98:99]
	v_mul_f64 v[230:231], v[90:91], s[2:3]
	v_fma_f64 v[228:229], v[88:89], s[2:3], -v[228:229]
	v_fma_f64 v[240:241], s[46:47], v[92:93], v[230:231]
	v_add_f64 v[96:97], v[228:229], v[96:97]
	v_fmac_f64_e32 v[230:231], s[14:15], v[92:93]
	v_mul_f64 v[228:229], v[94:95], s[22:23]
	v_add_f64 v[120:121], v[230:231], v[120:121]
	v_fma_f64 v[230:231], s[16:17], v[88:89], v[228:229]
	v_add_f64 v[130:131], v[230:231], v[130:131]
	v_mul_f64 v[230:231], v[90:91], s[16:17]
	v_fma_f64 v[228:229], v[88:89], s[16:17], -v[228:229]
	v_add_f64 v[122:123], v[240:241], v[122:123]
	v_fma_f64 v[240:241], s[54:55], v[92:93], v[230:231]
	v_add_f64 v[128:129], v[228:229], v[128:129]
	v_fmac_f64_e32 v[230:231], s[22:23], v[92:93]
	v_mul_f64 v[228:229], v[94:95], s[34:35]
	v_add_f64 v[132:133], v[230:231], v[132:133]
	v_fma_f64 v[230:231], s[24:25], v[88:89], v[228:229]
	v_add_f64 v[138:139], v[230:231], v[138:139]
	v_mul_f64 v[230:231], v[90:91], s[24:25]
	v_fma_f64 v[228:229], v[88:89], s[24:25], -v[228:229]
	v_add_f64 v[134:135], v[240:241], v[134:135]
	;; [unrolled: 10-line block ×5, first 2 shown]
	v_fma_f64 v[240:241], s[26:27], v[92:93], v[230:231]
	v_add_f64 v[168:169], v[228:229], v[168:169]
	v_fmac_f64_e32 v[230:231], s[44:45], v[92:93]
	v_mul_f64 v[228:229], v[94:95], s[40:41]
	v_add_f64 v[174:175], v[230:231], v[174:175]
	v_fma_f64 v[230:231], s[12:13], v[88:89], v[228:229]
	v_add_f64 v[184:185], v[230:231], v[184:185]
	v_mul_f64 v[230:231], v[90:91], s[12:13]
	v_fma_f64 v[228:229], v[88:89], s[12:13], -v[228:229]
	v_mul_f64 v[94:95], v[94:95], s[30:31]
	v_add_f64 v[176:177], v[240:241], v[176:177]
	v_fma_f64 v[240:241], s[18:19], v[92:93], v[230:231]
	v_add_f64 v[178:179], v[228:229], v[178:179]
	v_fmac_f64_e32 v[230:231], s[40:41], v[92:93]
	v_fma_f64 v[228:229], s[0:1], v[88:89], v[94:95]
	v_mul_f64 v[90:91], v[90:91], s[0:1]
	v_fma_f64 v[88:89], v[88:89], s[0:1], -v[94:95]
	v_add_f64 v[94:95], v[190:191], -v[206:207]
	v_add_f64 v[186:187], v[230:231], v[186:187]
	v_fma_f64 v[230:231], s[6:7], v[92:93], v[90:91]
	v_add_f64 v[0:1], v[88:89], v[0:1]
	v_fmac_f64_e32 v[90:91], s[30:31], v[92:93]
	v_add_f64 v[88:89], v[188:189], v[204:205]
	v_add_f64 v[92:93], v[188:189], -v[204:205]
	v_mul_f64 v[188:189], v[94:95], s[18:19]
	v_add_f64 v[2:3], v[90:91], v[2:3]
	v_add_f64 v[90:91], v[190:191], v[206:207]
	v_fma_f64 v[190:191], s[12:13], v[88:89], v[188:189]
	v_add_f64 v[98:99], v[190:191], v[98:99]
	v_mul_f64 v[190:191], v[90:91], s[12:13]
	v_fma_f64 v[188:189], v[88:89], s[12:13], -v[188:189]
	v_fma_f64 v[204:205], s[40:41], v[92:93], v[190:191]
	v_add_f64 v[96:97], v[188:189], v[96:97]
	v_fmac_f64_e32 v[190:191], s[18:19], v[92:93]
	v_mul_f64 v[188:189], v[94:95], s[34:35]
	v_add_f64 v[120:121], v[190:191], v[120:121]
	v_fma_f64 v[190:191], s[24:25], v[88:89], v[188:189]
	v_add_f64 v[130:131], v[190:191], v[130:131]
	v_mul_f64 v[190:191], v[90:91], s[24:25]
	v_fma_f64 v[188:189], v[88:89], s[24:25], -v[188:189]
	v_add_f64 v[122:123], v[204:205], v[122:123]
	v_fma_f64 v[204:205], s[52:53], v[92:93], v[190:191]
	v_add_f64 v[128:129], v[188:189], v[128:129]
	v_fmac_f64_e32 v[190:191], s[34:35], v[92:93]
	v_mul_f64 v[188:189], v[94:95], s[50:51]
	v_add_f64 v[132:133], v[190:191], v[132:133]
	v_fma_f64 v[190:191], s[36:37], v[88:89], v[188:189]
	v_add_f64 v[138:139], v[190:191], v[138:139]
	v_mul_f64 v[190:191], v[90:91], s[36:37]
	v_fma_f64 v[188:189], v[88:89], s[36:37], -v[188:189]
	v_add_f64 v[134:135], v[204:205], v[134:135]
	;; [unrolled: 10-line block ×5, first 2 shown]
	v_fma_f64 v[204:205], s[30:31], v[92:93], v[190:191]
	v_add_f64 v[168:169], v[188:189], v[168:169]
	v_fmac_f64_e32 v[190:191], s[6:7], v[92:93]
	v_mul_f64 v[188:189], v[94:95], s[22:23]
	v_add_f64 v[174:175], v[190:191], v[174:175]
	v_fma_f64 v[190:191], s[16:17], v[88:89], v[188:189]
	v_add_f64 v[184:185], v[190:191], v[184:185]
	v_mul_f64 v[190:191], v[90:91], s[16:17]
	v_fma_f64 v[188:189], v[88:89], s[16:17], -v[188:189]
	v_mul_f64 v[94:95], v[94:95], s[38:39]
	v_add_f64 v[176:177], v[204:205], v[176:177]
	v_fma_f64 v[204:205], s[54:55], v[92:93], v[190:191]
	v_add_f64 v[178:179], v[188:189], v[178:179]
	v_fmac_f64_e32 v[190:191], s[22:23], v[92:93]
	v_fma_f64 v[188:189], s[28:29], v[88:89], v[94:95]
	v_mul_f64 v[90:91], v[90:91], s[28:29]
	v_fma_f64 v[88:89], v[88:89], s[28:29], -v[94:95]
	v_add_f64 v[94:95], v[158:159], -v[166:167]
	v_add_f64 v[186:187], v[190:191], v[186:187]
	v_fma_f64 v[190:191], s[48:49], v[92:93], v[90:91]
	v_add_f64 v[0:1], v[88:89], v[0:1]
	v_fmac_f64_e32 v[90:91], s[38:39], v[92:93]
	v_add_f64 v[88:89], v[156:157], v[164:165]
	v_add_f64 v[92:93], v[156:157], -v[164:165]
	v_mul_f64 v[156:157], v[94:95], s[22:23]
	v_add_f64 v[2:3], v[90:91], v[2:3]
	v_add_f64 v[90:91], v[158:159], v[166:167]
	v_fma_f64 v[158:159], s[16:17], v[88:89], v[156:157]
	v_add_f64 v[98:99], v[158:159], v[98:99]
	v_mul_f64 v[158:159], v[90:91], s[16:17]
	v_fma_f64 v[156:157], v[88:89], s[16:17], -v[156:157]
	v_fma_f64 v[164:165], s[54:55], v[92:93], v[158:159]
	v_add_f64 v[96:97], v[156:157], v[96:97]
	v_fmac_f64_e32 v[158:159], s[22:23], v[92:93]
	v_mul_f64 v[156:157], v[94:95], s[42:43]
	v_add_f64 v[120:121], v[158:159], v[120:121]
	v_fma_f64 v[158:159], s[36:37], v[88:89], v[156:157]
	v_add_f64 v[130:131], v[158:159], v[130:131]
	v_mul_f64 v[158:159], v[90:91], s[36:37]
	v_fma_f64 v[156:157], v[88:89], s[36:37], -v[156:157]
	v_add_f64 v[122:123], v[164:165], v[122:123]
	v_fma_f64 v[164:165], s[50:51], v[92:93], v[158:159]
	v_add_f64 v[128:129], v[156:157], v[128:129]
	v_fmac_f64_e32 v[158:159], s[42:43], v[92:93]
	v_mul_f64 v[156:157], v[94:95], s[44:45]
	v_add_f64 v[132:133], v[158:159], v[132:133]
	v_fma_f64 v[158:159], s[20:21], v[88:89], v[156:157]
	v_add_f64 v[138:139], v[158:159], v[138:139]
	v_mul_f64 v[158:159], v[90:91], s[20:21]
	v_fma_f64 v[156:157], v[88:89], s[20:21], -v[156:157]
	v_add_f64 v[134:135], v[164:165], v[134:135]
	;; [unrolled: 10-line block ×3, first 2 shown]
	v_fma_f64 v[164:165], s[6:7], v[92:93], v[158:159]
	v_add_f64 v[144:145], v[156:157], v[144:145]
	v_fmac_f64_e32 v[158:159], s[30:31], v[92:93]
	v_mul_f64 v[156:157], v[94:95], s[18:19]
	v_add_f64 v[148:149], v[158:159], v[148:149]
	v_fma_f64 v[158:159], s[12:13], v[88:89], v[156:157]
	v_add_f64 v[154:155], v[158:159], v[154:155]
	v_mul_f64 v[158:159], v[90:91], s[12:13]
	v_add_f64 v[150:151], v[164:165], v[150:151]
	v_fma_f64 v[164:165], s[40:41], v[92:93], v[158:159]
	v_fma_f64 v[156:157], v[88:89], s[12:13], -v[156:157]
	v_fmac_f64_e32 v[158:159], s[18:19], v[92:93]
	v_add_f64 v[152:153], v[156:157], v[152:153]
	v_add_f64 v[156:157], v[158:159], v[160:161]
	v_mul_f64 v[158:159], v[94:95], s[38:39]
	v_fma_f64 v[160:161], s[28:29], v[88:89], v[158:159]
	v_fma_f64 v[158:159], v[88:89], s[28:29], -v[158:159]
	v_add_f64 v[162:163], v[164:165], v[162:163]
	v_mul_f64 v[164:165], v[90:91], s[28:29]
	v_add_f64 v[158:159], v[158:159], v[168:169]
	v_mul_f64 v[168:169], v[94:95], s[52:53]
	v_add_f64 v[160:161], v[160:161], v[172:173]
	v_fma_f64 v[166:167], s[48:49], v[92:93], v[164:165]
	v_fmac_f64_e32 v[164:165], s[38:39], v[92:93]
	v_fma_f64 v[172:173], s[24:25], v[88:89], v[168:169]
	v_fma_f64 v[168:169], v[88:89], s[24:25], -v[168:169]
	v_mul_f64 v[94:95], v[94:95], s[46:47]
	v_add_f64 v[164:165], v[164:165], v[174:175]
	v_mul_f64 v[174:175], v[90:91], s[24:25]
	v_add_f64 v[168:169], v[168:169], v[178:179]
	v_fma_f64 v[178:179], s[2:3], v[88:89], v[94:95]
	v_mul_f64 v[90:91], v[90:91], s[2:3]
	v_fma_f64 v[88:89], v[88:89], s[2:3], -v[94:95]
	v_add_f64 v[94:95], v[118:119], -v[126:127]
	v_add_f64 v[166:167], v[166:167], v[176:177]
	v_add_f64 v[172:173], v[172:173], v[184:185]
	v_fma_f64 v[176:177], s[34:35], v[92:93], v[174:175]
	v_fmac_f64_e32 v[174:175], s[52:53], v[92:93]
	v_fma_f64 v[184:185], s[14:15], v[92:93], v[90:91]
	v_add_f64 v[0:1], v[88:89], v[0:1]
	v_fmac_f64_e32 v[90:91], s[46:47], v[92:93]
	v_add_f64 v[88:89], v[116:117], v[124:125]
	v_add_f64 v[92:93], v[116:117], -v[124:125]
	v_mul_f64 v[116:117], v[94:95], s[26:27]
	v_add_f64 v[2:3], v[90:91], v[2:3]
	v_add_f64 v[90:91], v[118:119], v[126:127]
	v_fma_f64 v[118:119], s[20:21], v[88:89], v[116:117]
	v_add_f64 v[98:99], v[118:119], v[98:99]
	v_mul_f64 v[118:119], v[90:91], s[20:21]
	v_fma_f64 v[124:125], s[44:45], v[92:93], v[118:119]
	v_fma_f64 v[116:117], v[88:89], s[20:21], -v[116:117]
	v_fmac_f64_e32 v[118:119], s[26:27], v[92:93]
	v_add_f64 v[96:97], v[116:117], v[96:97]
	v_add_f64 v[116:117], v[118:119], v[120:121]
	v_mul_f64 v[118:119], v[94:95], s[48:49]
	v_fma_f64 v[120:121], s[28:29], v[88:89], v[118:119]
	v_fma_f64 v[118:119], v[88:89], s[28:29], -v[118:119]
	v_add_f64 v[122:123], v[124:125], v[122:123]
	v_mul_f64 v[124:125], v[90:91], s[28:29]
	v_add_f64 v[118:119], v[118:119], v[128:129]
	v_mul_f64 v[128:129], v[94:95], s[46:47]
	v_add_f64 v[120:121], v[120:121], v[130:131]
	v_fma_f64 v[126:127], s[38:39], v[92:93], v[124:125]
	v_fmac_f64_e32 v[124:125], s[48:49], v[92:93]
	v_fma_f64 v[130:131], s[2:3], v[88:89], v[128:129]
	v_fma_f64 v[128:129], v[88:89], s[2:3], -v[128:129]
	v_add_f64 v[124:125], v[124:125], v[132:133]
	v_mul_f64 v[132:133], v[90:91], s[2:3]
	v_add_f64 v[128:129], v[128:129], v[136:137]
	v_mul_f64 v[136:137], v[94:95], s[18:19]
	v_add_f64 v[126:127], v[126:127], v[134:135]
	v_add_f64 v[130:131], v[130:131], v[138:139]
	v_fma_f64 v[134:135], s[14:15], v[92:93], v[132:133]
	v_fmac_f64_e32 v[132:133], s[46:47], v[92:93]
	v_fma_f64 v[138:139], s[12:13], v[88:89], v[136:137]
	v_fma_f64 v[136:137], v[88:89], s[12:13], -v[136:137]
	v_add_f64 v[132:133], v[132:133], v[140:141]
	v_mul_f64 v[140:141], v[90:91], s[12:13]
	v_add_f64 v[136:137], v[136:137], v[144:145]
	v_mul_f64 v[144:145], v[94:95], s[42:43]
	v_add_f64 v[134:135], v[134:135], v[142:143]
	;; [unrolled: 10-line block ×4, first 2 shown]
	v_add_f64 v[154:155], v[154:155], v[160:161]
	v_fma_f64 v[160:161], s[22:23], v[92:93], v[156:157]
	v_fmac_f64_e32 v[156:157], s[54:55], v[92:93]
	v_fma_f64 v[162:163], s[0:1], v[88:89], v[158:159]
	v_fma_f64 v[158:159], v[88:89], s[0:1], -v[158:159]
	v_mul_f64 v[94:95], v[94:95], s[34:35]
	v_add_f64 v[156:157], v[156:157], v[164:165]
	v_mul_f64 v[164:165], v[90:91], s[0:1]
	v_add_f64 v[158:159], v[158:159], v[168:169]
	v_fma_f64 v[168:169], s[24:25], v[88:89], v[94:95]
	v_mul_f64 v[90:91], v[90:91], s[24:25]
	v_fma_f64 v[88:89], v[88:89], s[24:25], -v[94:95]
	v_add_f64 v[94:95], v[110:111], -v[114:115]
	v_add_f64 v[160:161], v[160:161], v[166:167]
	v_add_f64 v[162:163], v[162:163], v[172:173]
	v_fma_f64 v[166:167], s[30:31], v[92:93], v[164:165]
	v_fmac_f64_e32 v[164:165], s[6:7], v[92:93]
	v_fma_f64 v[172:173], s[52:53], v[92:93], v[90:91]
	v_add_f64 v[0:1], v[88:89], v[0:1]
	v_fmac_f64_e32 v[90:91], s[34:35], v[92:93]
	v_add_f64 v[88:89], v[108:109], v[112:113]
	v_add_f64 v[92:93], v[108:109], -v[112:113]
	v_mul_f64 v[108:109], v[94:95], s[34:35]
	v_add_f64 v[2:3], v[90:91], v[2:3]
	v_add_f64 v[90:91], v[110:111], v[114:115]
	v_fma_f64 v[110:111], s[24:25], v[88:89], v[108:109]
	v_add_f64 v[98:99], v[110:111], v[98:99]
	v_mul_f64 v[110:111], v[90:91], s[24:25]
	v_fma_f64 v[112:113], s[52:53], v[92:93], v[110:111]
	v_fma_f64 v[108:109], v[88:89], s[24:25], -v[108:109]
	v_fmac_f64_e32 v[110:111], s[34:35], v[92:93]
	v_add_f64 v[96:97], v[108:109], v[96:97]
	v_add_f64 v[108:109], v[110:111], v[116:117]
	v_mul_f64 v[110:111], v[94:95], s[44:45]
	v_fma_f64 v[114:115], s[20:21], v[88:89], v[110:111]
	v_fma_f64 v[110:111], v[88:89], s[20:21], -v[110:111]
	v_mul_f64 v[116:117], v[90:91], s[20:21]
	v_add_f64 v[110:111], v[110:111], v[118:119]
	v_mul_f64 v[118:119], v[94:95], s[6:7]
	v_add_f64 v[112:113], v[112:113], v[122:123]
	v_add_f64 v[114:115], v[114:115], v[120:121]
	v_fma_f64 v[120:121], s[26:27], v[92:93], v[116:117]
	v_fmac_f64_e32 v[116:117], s[44:45], v[92:93]
	v_fma_f64 v[122:123], s[0:1], v[88:89], v[118:119]
	v_fma_f64 v[118:119], v[88:89], s[0:1], -v[118:119]
	v_add_f64 v[116:117], v[116:117], v[124:125]
	v_mul_f64 v[124:125], v[90:91], s[0:1]
	v_add_f64 v[118:119], v[118:119], v[128:129]
	v_mul_f64 v[128:129], v[94:95], s[38:39]
	v_add_f64 v[120:121], v[120:121], v[126:127]
	v_add_f64 v[122:123], v[122:123], v[130:131]
	v_fma_f64 v[126:127], s[30:31], v[92:93], v[124:125]
	v_fmac_f64_e32 v[124:125], s[6:7], v[92:93]
	v_fma_f64 v[130:131], s[28:29], v[88:89], v[128:129]
	v_fma_f64 v[128:129], v[88:89], s[28:29], -v[128:129]
	v_add_f64 v[124:125], v[124:125], v[132:133]
	v_mul_f64 v[132:133], v[90:91], s[28:29]
	v_add_f64 v[128:129], v[128:129], v[136:137]
	v_mul_f64 v[136:137], v[94:95], s[54:55]
	v_add_f64 v[126:127], v[126:127], v[134:135]
	v_add_f64 v[130:131], v[130:131], v[138:139]
	v_fma_f64 v[134:135], s[48:49], v[92:93], v[132:133]
	v_fmac_f64_e32 v[132:133], s[38:39], v[92:93]
	v_fma_f64 v[138:139], s[16:17], v[88:89], v[136:137]
	v_fma_f64 v[136:137], v[88:89], s[16:17], -v[136:137]
	v_add_f64 v[132:133], v[132:133], v[140:141]
	v_mul_f64 v[140:141], v[90:91], s[16:17]
	v_add_f64 v[136:137], v[136:137], v[144:145]
	v_mul_f64 v[144:145], v[94:95], s[14:15]
	v_add_f64 v[134:135], v[134:135], v[142:143]
	v_add_f64 v[138:139], v[138:139], v[146:147]
	v_fma_f64 v[142:143], s[22:23], v[92:93], v[140:141]
	v_fmac_f64_e32 v[140:141], s[54:55], v[92:93]
	v_fma_f64 v[146:147], s[2:3], v[88:89], v[144:145]
	v_fma_f64 v[144:145], v[88:89], s[2:3], -v[144:145]
	v_add_f64 v[140:141], v[140:141], v[148:149]
	v_mul_f64 v[148:149], v[90:91], s[2:3]
	v_add_f64 v[144:145], v[144:145], v[152:153]
	v_mul_f64 v[152:153], v[94:95], s[42:43]
	v_add_f64 v[142:143], v[142:143], v[150:151]
	v_add_f64 v[146:147], v[146:147], v[154:155]
	v_fma_f64 v[150:151], s[46:47], v[92:93], v[148:149]
	v_fmac_f64_e32 v[148:149], s[14:15], v[92:93]
	v_fma_f64 v[154:155], s[36:37], v[88:89], v[152:153]
	v_fma_f64 v[152:153], v[88:89], s[36:37], -v[152:153]
	v_mul_f64 v[94:95], v[94:95], s[40:41]
	v_add_f64 v[148:149], v[148:149], v[156:157]
	v_mul_f64 v[156:157], v[90:91], s[36:37]
	v_add_f64 v[152:153], v[152:153], v[158:159]
	v_fma_f64 v[158:159], s[12:13], v[88:89], v[94:95]
	v_mul_f64 v[90:91], v[90:91], s[12:13]
	v_fma_f64 v[88:89], v[88:89], s[12:13], -v[94:95]
	v_add_f64 v[94:95], v[102:103], -v[106:107]
	v_add_f64 v[150:151], v[150:151], v[160:161]
	v_add_f64 v[154:155], v[154:155], v[162:163]
	v_fma_f64 v[160:161], s[50:51], v[92:93], v[156:157]
	v_fmac_f64_e32 v[156:157], s[42:43], v[92:93]
	v_fma_f64 v[162:163], s[18:19], v[92:93], v[90:91]
	v_add_f64 v[0:1], v[88:89], v[0:1]
	v_fmac_f64_e32 v[90:91], s[40:41], v[92:93]
	v_add_f64 v[88:89], v[100:101], v[104:105]
	v_add_f64 v[92:93], v[100:101], -v[104:105]
	v_mul_f64 v[100:101], v[94:95], s[38:39]
	v_add_f64 v[2:3], v[90:91], v[2:3]
	v_add_f64 v[90:91], v[102:103], v[106:107]
	v_fma_f64 v[102:103], s[28:29], v[88:89], v[100:101]
	v_add_f64 v[98:99], v[102:103], v[98:99]
	v_mul_f64 v[102:103], v[90:91], s[28:29]
	v_fma_f64 v[104:105], s[48:49], v[92:93], v[102:103]
	v_fma_f64 v[100:101], v[88:89], s[28:29], -v[100:101]
	v_fmac_f64_e32 v[102:103], s[38:39], v[92:93]
	v_add_f64 v[96:97], v[100:101], v[96:97]
	v_add_f64 v[100:101], v[102:103], v[108:109]
	v_mul_f64 v[102:103], v[94:95], s[40:41]
	v_fma_f64 v[106:107], s[12:13], v[88:89], v[102:103]
	v_mul_f64 v[108:109], v[90:91], s[12:13]
	v_fma_f64 v[102:103], v[88:89], s[12:13], -v[102:103]
	v_add_f64 v[104:105], v[104:105], v[112:113]
	v_fma_f64 v[112:113], s[18:19], v[92:93], v[108:109]
	v_add_f64 v[102:103], v[102:103], v[110:111]
	v_fmac_f64_e32 v[108:109], s[40:41], v[92:93]
	v_mul_f64 v[110:111], v[94:95], s[22:23]
	v_add_f64 v[106:107], v[106:107], v[114:115]
	v_add_f64 v[108:109], v[108:109], v[116:117]
	v_fma_f64 v[114:115], s[16:17], v[88:89], v[110:111]
	v_mul_f64 v[116:117], v[90:91], s[16:17]
	v_fma_f64 v[110:111], v[88:89], s[16:17], -v[110:111]
	v_add_f64 v[112:113], v[112:113], v[120:121]
	v_fma_f64 v[120:121], s[54:55], v[92:93], v[116:117]
	v_add_f64 v[110:111], v[110:111], v[118:119]
	v_fmac_f64_e32 v[116:117], s[22:23], v[92:93]
	v_mul_f64 v[118:119], v[94:95], s[52:53]
	v_add_f64 v[114:115], v[114:115], v[122:123]
	v_add_f64 v[116:117], v[116:117], v[124:125]
	;; [unrolled: 10-line block ×3, first 2 shown]
	v_fma_f64 v[130:131], s[0:1], v[88:89], v[128:129]
	v_mul_f64 v[132:133], v[90:91], s[0:1]
	v_fma_f64 v[128:129], v[88:89], s[0:1], -v[128:129]
	v_add_f64 v[240:241], v[240:241], v[244:245]
	v_add_f64 v[126:127], v[126:127], v[134:135]
	v_fma_f64 v[134:135], s[30:31], v[92:93], v[132:133]
	v_add_f64 v[128:129], v[128:129], v[136:137]
	v_fmac_f64_e32 v[132:133], s[6:7], v[92:93]
	v_mul_f64 v[136:137], v[94:95], s[42:43]
	v_add_f64 v[228:229], v[228:229], v[246:247]
	v_add_f64 v[230:231], v[230:231], v[252:253]
	v_add_f64 v[204:205], v[204:205], v[240:241]
	v_add_f64 v[130:131], v[130:131], v[138:139]
	v_add_f64 v[132:133], v[132:133], v[140:141]
	v_fma_f64 v[138:139], s[36:37], v[88:89], v[136:137]
	v_mul_f64 v[140:141], v[90:91], s[36:37]
	v_fma_f64 v[136:137], v[88:89], s[36:37], -v[136:137]
	v_add_f64 v[188:189], v[188:189], v[228:229]
	v_add_f64 v[190:191], v[190:191], v[230:231]
	;; [unrolled: 1-line block ×5, first 2 shown]
	v_fma_f64 v[142:143], s[50:51], v[92:93], v[140:141]
	v_add_f64 v[136:137], v[136:137], v[144:145]
	v_fmac_f64_e32 v[140:141], s[42:43], v[92:93]
	v_mul_f64 v[144:145], v[94:95], s[46:47]
	v_add_f64 v[178:179], v[178:179], v[188:189]
	v_add_f64 v[184:185], v[184:185], v[190:191]
	;; [unrolled: 1-line block ×6, first 2 shown]
	v_fma_f64 v[146:147], s[2:3], v[88:89], v[144:145]
	v_mul_f64 v[148:149], v[90:91], s[2:3]
	v_fma_f64 v[144:145], v[88:89], s[2:3], -v[144:145]
	v_mul_f64 v[94:95], v[94:95], s[26:27]
	v_add_f64 v[168:169], v[168:169], v[178:179]
	v_add_f64 v[172:173], v[172:173], v[184:185]
	;; [unrolled: 1-line block ×5, first 2 shown]
	v_fma_f64 v[150:151], s[14:15], v[92:93], v[148:149]
	v_add_f64 v[144:145], v[144:145], v[152:153]
	v_fmac_f64_e32 v[148:149], s[46:47], v[92:93]
	v_fma_f64 v[152:153], s[20:21], v[88:89], v[94:95]
	v_mul_f64 v[90:91], v[90:91], s[20:21]
	v_fma_f64 v[88:89], v[88:89], s[20:21], -v[94:95]
	v_add_f64 v[166:167], v[82:83], -v[86:87]
	v_add_f64 v[158:159], v[158:159], v[168:169]
	v_add_f64 v[162:163], v[162:163], v[172:173]
	;; [unrolled: 1-line block ×5, first 2 shown]
	v_fma_f64 v[154:155], s[44:45], v[92:93], v[90:91]
	v_add_f64 v[156:157], v[88:89], v[0:1]
	v_fmac_f64_e32 v[90:91], s[26:27], v[92:93]
	v_add_f64 v[160:161], v[80:81], v[84:85]
	v_mul_f64 v[0:1], v[166:167], s[42:43]
	v_add_f64 v[152:153], v[152:153], v[158:159]
	v_add_f64 v[154:155], v[154:155], v[162:163]
	;; [unrolled: 1-line block ×4, first 2 shown]
	v_fma_f64 v[2:3], s[36:37], v[160:161], v[0:1]
	v_add_f64 v[164:165], v[80:81], -v[84:85]
	v_add_f64 v[88:89], v[2:3], v[98:99]
	v_mul_f64 v[2:3], v[162:163], s[36:37]
	v_fma_f64 v[80:81], s[50:51], v[164:165], v[2:3]
	v_add_f64 v[90:91], v[80:81], v[104:105]
	v_mul_f64 v[80:81], v[166:167], s[30:31]
	v_fma_f64 v[82:83], s[0:1], v[160:161], v[80:81]
	;; [unrolled: 3-line block ×3, first 2 shown]
	v_add_f64 v[94:95], v[84:85], v[112:113]
	v_mul_f64 v[84:85], v[166:167], s[38:39]
	v_fma_f64 v[0:1], v[160:161], s[36:37], -v[0:1]
	v_fma_f64 v[86:87], s[28:29], v[160:161], v[84:85]
	v_add_f64 v[0:1], v[0:1], v[96:97]
	v_add_f64 v[96:97], v[86:87], v[114:115]
	v_mul_f64 v[86:87], v[162:163], s[28:29]
	v_fma_f64 v[98:99], s[48:49], v[164:165], v[86:87]
	v_fmac_f64_e32 v[2:3], s[42:43], v[164:165]
	v_fmac_f64_e32 v[82:83], s[30:31], v[164:165]
	v_add_f64 v[98:99], v[98:99], v[120:121]
	v_fmac_f64_e32 v[86:87], s[38:39], v[164:165]
	v_mul_f64 v[104:105], v[166:167], s[46:47]
	v_mul_f64 v[112:113], v[166:167], s[34:35]
	;; [unrolled: 1-line block ×3, first 2 shown]
	v_add_f64 v[2:3], v[2:3], v[100:101]
	v_fma_f64 v[80:81], v[160:161], s[0:1], -v[80:81]
	v_add_f64 v[82:83], v[82:83], v[108:109]
	v_fma_f64 v[84:85], v[160:161], s[28:29], -v[84:85]
	v_add_f64 v[86:87], v[86:87], v[116:117]
	v_fma_f64 v[100:101], s[2:3], v[160:161], v[104:105]
	v_mul_f64 v[106:107], v[162:163], s[2:3]
	v_fma_f64 v[108:109], s[24:25], v[160:161], v[112:113]
	v_mul_f64 v[114:115], v[162:163], s[24:25]
	v_fma_f64 v[112:113], v[160:161], s[24:25], -v[112:113]
	v_fma_f64 v[116:117], s[12:13], v[160:161], v[120:121]
	v_fma_f64 v[120:121], v[160:161], s[12:13], -v[120:121]
	v_add_f64 v[80:81], v[80:81], v[102:103]
	v_add_f64 v[84:85], v[84:85], v[110:111]
	;; [unrolled: 1-line block ×3, first 2 shown]
	v_fma_f64 v[102:103], s[14:15], v[164:165], v[106:107]
	v_fma_f64 v[104:105], v[160:161], s[2:3], -v[104:105]
	v_fmac_f64_e32 v[106:107], s[46:47], v[164:165]
	v_add_f64 v[108:109], v[108:109], v[130:131]
	v_fma_f64 v[110:111], s[52:53], v[164:165], v[114:115]
	v_add_f64 v[112:113], v[112:113], v[128:129]
	v_fmac_f64_e32 v[114:115], s[34:35], v[164:165]
	v_add_f64 v[116:117], v[116:117], v[138:139]
	v_mul_f64 v[122:123], v[162:163], s[12:13]
	v_add_f64 v[120:121], v[120:121], v[136:137]
	v_mul_f64 v[128:129], v[166:167], s[26:27]
	v_mul_f64 v[130:131], v[162:163], s[20:21]
	;; [unrolled: 1-line block ×4, first 2 shown]
	v_add_f64 v[102:103], v[102:103], v[126:127]
	v_add_f64 v[104:105], v[104:105], v[118:119]
	v_add_f64 v[106:107], v[106:107], v[124:125]
	v_add_f64 v[110:111], v[110:111], v[134:135]
	v_add_f64 v[114:115], v[114:115], v[132:133]
	v_fma_f64 v[118:119], s[18:19], v[164:165], v[122:123]
	v_fmac_f64_e32 v[122:123], s[40:41], v[164:165]
	v_fma_f64 v[124:125], s[20:21], v[160:161], v[128:129]
	v_fma_f64 v[126:127], s[44:45], v[164:165], v[130:131]
	v_fma_f64 v[128:129], v[160:161], s[20:21], -v[128:129]
	v_fmac_f64_e32 v[130:131], s[26:27], v[164:165]
	v_fma_f64 v[132:133], s[16:17], v[160:161], v[136:137]
	v_fma_f64 v[134:135], s[22:23], v[164:165], v[138:139]
	v_fma_f64 v[136:137], v[160:161], s[16:17], -v[136:137]
	v_fmac_f64_e32 v[138:139], s[54:55], v[164:165]
	v_add_f64 v[118:119], v[118:119], v[142:143]
	v_add_f64 v[122:123], v[122:123], v[140:141]
	;; [unrolled: 1-line block ×10, first 2 shown]
	ds_write_b128 v208, v[4:7]
	ds_write_b128 v208, v[20:23] offset:112
	ds_write_b128 v208, v[28:31] offset:224
	;; [unrolled: 1-line block ×16, first 2 shown]
	ds_write_b128 v209, v[68:71]
	ds_write_b128 v209, v[88:91] offset:112
	ds_write_b128 v209, v[92:95] offset:224
	;; [unrolled: 1-line block ×16, first 2 shown]
	s_and_saveexec_b64 s[56:57], vcc
	s_cbranch_execz .LBB0_9
; %bb.8:
	buffer_load_dword v6, off, s[60:63], 0 offset:748 ; 4-byte Folded Reload
	buffer_load_dword v7, off, s[60:63], 0 offset:752 ; 4-byte Folded Reload
	;; [unrolled: 1-line block ×8, first 2 shown]
	v_accvgpr_read_b32 v0, a226
	v_accvgpr_read_b32 v2, a228
	;; [unrolled: 1-line block ×28, first 2 shown]
	v_accvgpr_write_b32 a0, v196
	v_accvgpr_write_b32 a1, v197
	v_accvgpr_write_b32 a2, v198
	v_accvgpr_write_b32 a3, v199
	v_accvgpr_write_b32 a4, v200
	v_accvgpr_write_b32 a5, v201
	v_accvgpr_write_b32 a6, v202
	v_accvgpr_write_b32 a7, v203
	v_accvgpr_write_b32 a8, v216
	v_accvgpr_write_b32 a9, v217
	s_waitcnt vmcnt(4)
	v_mul_f64 v[52:53], v[8:9], v[2:3]
	v_fmac_f64_e32 v[52:53], v[6:7], v[0:1]
	v_mul_f64 v[0:1], v[8:9], v[0:1]
	s_waitcnt vmcnt(0)
	v_mul_f64 v[54:55], v[12:13], v[16:17]
	v_fma_f64 v[60:61], v[6:7], v[2:3], -v[0:1]
	v_mul_f64 v[0:1], v[12:13], v[14:15]
	v_fmac_f64_e32 v[54:55], v[10:11], v[14:15]
	v_fma_f64 v[62:63], v[10:11], v[16:17], -v[0:1]
	buffer_load_dword v8, off, s[60:63], 0 offset:732 ; 4-byte Folded Reload
	buffer_load_dword v9, off, s[60:63], 0 offset:736 ; 4-byte Folded Reload
	;; [unrolled: 1-line block ×8, first 2 shown]
	v_accvgpr_read_b32 v16, a200
	v_accvgpr_read_b32 v17, a201
	;; [unrolled: 1-line block ×4, first 2 shown]
	v_add_f64 v[126:127], v[52:53], -v[54:55]
	v_mul_f64 v[4:5], v[126:127], s[54:55]
	v_add_f64 v[100:101], v[60:61], v[62:63]
	v_add_f64 v[204:205], v[60:61], -v[62:63]
	v_fma_f64 v[0:1], s[16:17], v[100:101], v[4:5]
	v_add_f64 v[144:145], v[52:53], v[54:55]
	v_fma_f64 v[4:5], v[100:101], s[16:17], -v[4:5]
	s_waitcnt vmcnt(4)
	v_mul_f64 v[2:3], v[10:11], v[16:17]
	s_waitcnt vmcnt(0)
	v_mul_f64 v[58:59], v[14:15], v[22:23]
	v_fma_f64 v[72:73], v[8:9], v[18:19], -v[2:3]
	v_mul_f64 v[2:3], v[14:15], v[20:21]
	v_mul_f64 v[56:57], v[10:11], v[18:19]
	v_fmac_f64_e32 v[58:59], v[12:13], v[20:21]
	v_fma_f64 v[68:69], v[12:13], v[22:23], -v[2:3]
	buffer_load_dword v12, off, s[60:63], 0 offset:716 ; 4-byte Folded Reload
	buffer_load_dword v13, off, s[60:63], 0 offset:720 ; 4-byte Folded Reload
	buffer_load_dword v14, off, s[60:63], 0 offset:724 ; 4-byte Folded Reload
	buffer_load_dword v15, off, s[60:63], 0 offset:728 ; 4-byte Folded Reload
	v_fmac_f64_e32 v[56:57], v[8:9], v[16:17]
	buffer_load_dword v16, off, s[60:63], 0 offset:780 ; 4-byte Folded Reload
	buffer_load_dword v17, off, s[60:63], 0 offset:784 ; 4-byte Folded Reload
	buffer_load_dword v18, off, s[60:63], 0 offset:788 ; 4-byte Folded Reload
	buffer_load_dword v19, off, s[60:63], 0 offset:792 ; 4-byte Folded Reload
	v_accvgpr_read_b32 v20, a156
	v_accvgpr_read_b32 v21, a157
	v_accvgpr_read_b32 v22, a158
	v_accvgpr_read_b32 v23, a159
	v_add_f64 v[132:133], v[56:57], -v[58:59]
	v_mul_f64 v[6:7], v[132:133], s[26:27]
	v_add_f64 v[110:111], v[72:73], v[68:69]
	v_add_f64 v[206:207], v[72:73], -v[68:69]
	v_fma_f64 v[2:3], s[20:21], v[110:111], v[6:7]
	v_add_f64 v[146:147], v[56:57], v[58:59]
	v_fma_f64 v[6:7], v[110:111], s[20:21], -v[6:7]
	s_waitcnt vmcnt(4)
	v_mul_f64 v[10:11], v[14:15], v[20:21]
	v_fma_f64 v[84:85], v[12:13], v[22:23], -v[10:11]
	s_waitcnt vmcnt(0)
	v_mul_f64 v[64:65], v[18:19], v[26:27]
	v_mul_f64 v[10:11], v[18:19], v[24:25]
	v_mul_f64 v[66:67], v[14:15], v[22:23]
	v_fmac_f64_e32 v[64:65], v[16:17], v[24:25]
	v_fma_f64 v[80:81], v[16:17], v[26:27], -v[10:11]
	buffer_load_dword v16, off, s[60:63], 0 offset:700 ; 4-byte Folded Reload
	buffer_load_dword v17, off, s[60:63], 0 offset:704 ; 4-byte Folded Reload
	buffer_load_dword v18, off, s[60:63], 0 offset:708 ; 4-byte Folded Reload
	buffer_load_dword v19, off, s[60:63], 0 offset:712 ; 4-byte Folded Reload
	v_fmac_f64_e32 v[66:67], v[12:13], v[20:21]
	buffer_load_dword v20, off, s[60:63], 0 offset:764 ; 4-byte Folded Reload
	buffer_load_dword v21, off, s[60:63], 0 offset:768 ; 4-byte Folded Reload
	buffer_load_dword v22, off, s[60:63], 0 offset:772 ; 4-byte Folded Reload
	buffer_load_dword v23, off, s[60:63], 0 offset:776 ; 4-byte Folded Reload
	v_accvgpr_read_b32 v24, a112
	v_accvgpr_read_b32 v25, a113
	v_accvgpr_read_b32 v26, a114
	v_accvgpr_read_b32 v27, a115
	v_add_f64 v[136:137], v[66:67], -v[64:65]
	v_mul_f64 v[8:9], v[136:137], s[40:41]
	v_add_f64 v[118:119], v[84:85], v[80:81]
	v_add_f64 v[228:229], v[84:85], -v[80:81]
	v_fma_f64 v[10:11], s[12:13], v[118:119], v[8:9]
	v_add_f64 v[150:151], v[66:67], v[64:65]
	v_fma_f64 v[8:9], v[118:119], s[12:13], -v[8:9]
	s_waitcnt vmcnt(4)
	v_mul_f64 v[14:15], v[18:19], v[24:25]
	v_fma_f64 v[92:93], v[16:17], v[26:27], -v[14:15]
	s_waitcnt vmcnt(0)
	v_mul_f64 v[70:71], v[22:23], v[30:31]
	v_mul_f64 v[14:15], v[22:23], v[28:29]
	v_mul_f64 v[74:75], v[18:19], v[26:27]
	v_fmac_f64_e32 v[70:71], v[20:21], v[28:29]
	v_fma_f64 v[88:89], v[20:21], v[30:31], -v[14:15]
	buffer_load_dword v20, off, s[60:63], 0 offset:684 ; 4-byte Folded Reload
	buffer_load_dword v21, off, s[60:63], 0 offset:688 ; 4-byte Folded Reload
	buffer_load_dword v22, off, s[60:63], 0 offset:692 ; 4-byte Folded Reload
	buffer_load_dword v23, off, s[60:63], 0 offset:696 ; 4-byte Folded Reload
	v_fmac_f64_e32 v[74:75], v[16:17], v[24:25]
	buffer_load_dword v24, off, s[60:63], 0 offset:876 ; 4-byte Folded Reload
	buffer_load_dword v25, off, s[60:63], 0 offset:880 ; 4-byte Folded Reload
	buffer_load_dword v26, off, s[60:63], 0 offset:884 ; 4-byte Folded Reload
	buffer_load_dword v27, off, s[60:63], 0 offset:888 ; 4-byte Folded Reload
	v_accvgpr_read_b32 v28, a64
	v_accvgpr_read_b32 v29, a65
	v_accvgpr_read_b32 v30, a66
	v_accvgpr_read_b32 v31, a67
	v_add_f64 v[140:141], v[74:75], -v[70:71]
	v_mul_f64 v[12:13], v[140:141], s[34:35]
	v_add_f64 v[124:125], v[92:93], v[88:89]
	v_add_f64 v[230:231], v[92:93], -v[88:89]
	v_fma_f64 v[14:15], s[24:25], v[124:125], v[12:13]
	v_add_f64 v[152:153], v[74:75], v[70:71]
	v_fma_f64 v[12:13], v[124:125], s[24:25], -v[12:13]
	s_waitcnt vmcnt(4)
	v_mul_f64 v[18:19], v[22:23], v[28:29]
	v_fma_f64 v[102:103], v[20:21], v[30:31], -v[18:19]
	s_waitcnt vmcnt(0)
	v_mul_f64 v[82:83], v[26:27], v[34:35]
	v_mul_f64 v[18:19], v[26:27], v[32:33]
	v_mul_f64 v[86:87], v[22:23], v[30:31]
	v_fmac_f64_e32 v[82:83], v[24:25], v[32:33]
	v_fma_f64 v[96:97], v[24:25], v[34:35], -v[18:19]
	buffer_load_dword v24, off, s[60:63], 0 offset:668 ; 4-byte Folded Reload
	buffer_load_dword v25, off, s[60:63], 0 offset:672 ; 4-byte Folded Reload
	buffer_load_dword v26, off, s[60:63], 0 offset:676 ; 4-byte Folded Reload
	buffer_load_dword v27, off, s[60:63], 0 offset:680 ; 4-byte Folded Reload
	v_fmac_f64_e32 v[86:87], v[20:21], v[28:29]
	buffer_load_dword v28, off, s[60:63], 0 offset:860 ; 4-byte Folded Reload
	buffer_load_dword v29, off, s[60:63], 0 offset:864 ; 4-byte Folded Reload
	buffer_load_dword v30, off, s[60:63], 0 offset:868 ; 4-byte Folded Reload
	buffer_load_dword v31, off, s[60:63], 0 offset:872 ; 4-byte Folded Reload
	v_accvgpr_read_b32 v32, a52
	v_accvgpr_read_b32 v33, a53
	v_accvgpr_read_b32 v34, a54
	v_accvgpr_read_b32 v35, a55
	v_add_f64 v[148:149], v[86:87], -v[82:83]
	v_mul_f64 v[16:17], v[148:149], s[46:47]
	v_add_f64 v[130:131], v[102:103], v[96:97]
	v_add_f64 v[240:241], v[102:103], -v[96:97]
	v_fma_f64 v[18:19], s[2:3], v[130:131], v[16:17]
	v_add_f64 v[154:155], v[86:87], v[82:83]
	v_fma_f64 v[16:17], v[130:131], s[2:3], -v[16:17]
	s_waitcnt vmcnt(4)
	v_mul_f64 v[22:23], v[26:27], v[32:33]
	v_fma_f64 v[112:113], v[24:25], v[34:35], -v[22:23]
	s_waitcnt vmcnt(0)
	v_mul_f64 v[90:91], v[30:31], v[38:39]
	v_mul_f64 v[22:23], v[30:31], v[36:37]
	v_mul_f64 v[94:95], v[26:27], v[34:35]
	v_fmac_f64_e32 v[90:91], v[28:29], v[36:37]
	v_fma_f64 v[106:107], v[28:29], v[38:39], -v[22:23]
	buffer_load_dword v28, off, s[60:63], 0 offset:652 ; 4-byte Folded Reload
	buffer_load_dword v29, off, s[60:63], 0 offset:656 ; 4-byte Folded Reload
	;; [unrolled: 1-line block ×4, first 2 shown]
	v_fmac_f64_e32 v[94:95], v[24:25], v[32:33]
	buffer_load_dword v32, off, s[60:63], 0 offset:828 ; 4-byte Folded Reload
	buffer_load_dword v33, off, s[60:63], 0 offset:832 ; 4-byte Folded Reload
	;; [unrolled: 1-line block ×4, first 2 shown]
	v_accvgpr_read_b32 v36, a84
	v_accvgpr_read_b32 v37, a85
	;; [unrolled: 1-line block ×4, first 2 shown]
	v_add_f64 v[166:167], v[94:95], -v[90:91]
	v_mul_f64 v[20:21], v[166:167], s[38:39]
	v_add_f64 v[134:135], v[112:113], v[106:107]
	v_add_f64 v[242:243], v[112:113], -v[106:107]
	v_fma_f64 v[22:23], s[28:29], v[134:135], v[20:21]
	v_add_f64 v[156:157], v[94:95], v[90:91]
	s_waitcnt vmcnt(4)
	v_mul_f64 v[26:27], v[30:31], v[180:181]
	v_fma_f64 v[120:121], v[28:29], v[182:183], -v[26:27]
	s_waitcnt vmcnt(0)
	v_mul_f64 v[98:99], v[34:35], v[38:39]
	v_mul_f64 v[26:27], v[34:35], v[36:37]
	v_fmac_f64_e32 v[98:99], v[32:33], v[36:37]
	v_fma_f64 v[116:117], v[32:33], v[38:39], -v[26:27]
	buffer_load_dword v32, off, s[60:63], 0 offset:636 ; 4-byte Folded Reload
	buffer_load_dword v33, off, s[60:63], 0 offset:640 ; 4-byte Folded Reload
	;; [unrolled: 1-line block ×8, first 2 shown]
	v_mul_f64 v[104:105], v[30:31], v[182:183]
	v_fmac_f64_e32 v[104:105], v[28:29], v[180:181]
	v_add_f64 v[188:189], v[104:105], -v[98:99]
	v_mul_f64 v[24:25], v[188:189], s[30:31]
	v_add_f64 v[138:139], v[120:121], v[116:117]
	v_add_f64 v[244:245], v[120:121], -v[116:117]
	v_fma_f64 v[26:27], s[0:1], v[138:139], v[24:25]
	v_add_f64 v[158:159], v[104:105], v[98:99]
	v_mul_f64 v[42:43], v[244:245], s[30:31]
	v_fma_f64 v[44:45], v[158:159], s[0:1], -v[42:43]
	v_fmac_f64_e32 v[42:43], s[0:1], v[158:159]
	v_mul_f64 v[50:51], v[244:245], s[40:41]
	v_fma_f64 v[160:161], v[158:159], s[12:13], -v[50:51]
	v_fmac_f64_e32 v[50:51], s[12:13], v[158:159]
	;; [unrolled: 3-line block ×4, first 2 shown]
	v_mul_f64 v[254:255], v[244:245], s[42:43]
	v_mul_f64 v[182:183], v[166:167], s[34:35]
	s_waitcnt vmcnt(4)
	v_mul_f64 v[114:115], v[34:35], v[214:215]
	s_waitcnt vmcnt(0)
	v_mul_f64 v[108:109], v[38:39], v[194:195]
	v_mul_f64 v[30:31], v[34:35], v[212:213]
	v_fmac_f64_e32 v[114:115], v[32:33], v[212:213]
	v_fmac_f64_e32 v[108:109], v[36:37], v[192:193]
	v_fma_f64 v[128:129], v[32:33], v[214:215], -v[30:31]
	v_mul_f64 v[30:31], v[38:39], v[192:193]
	v_add_f64 v[190:191], v[114:115], -v[108:109]
	v_fma_f64 v[122:123], v[36:37], v[194:195], -v[30:31]
	v_mul_f64 v[28:29], v[190:191], s[42:43]
	v_add_f64 v[142:143], v[128:129], v[122:123]
	v_add_f64 v[246:247], v[128:129], -v[122:123]
	v_fma_f64 v[30:31], s[36:37], v[142:143], v[28:29]
	v_add_f64 v[164:165], v[114:115], v[108:109]
	v_mul_f64 v[46:47], v[246:247], s[42:43]
	v_add_f64 v[30:31], v[250:251], v[30:31]
	v_fma_f64 v[48:49], v[164:165], s[36:37], -v[46:47]
	v_add_f64 v[26:27], v[26:27], v[30:31]
	v_mul_f64 v[38:39], v[242:243], s[38:39]
	v_add_f64 v[48:49], v[248:249], v[48:49]
	v_add_f64 v[22:23], v[22:23], v[26:27]
	v_mul_f64 v[34:35], v[240:241], s[46:47]
	v_fma_f64 v[40:41], v[156:157], s[28:29], -v[38:39]
	v_add_f64 v[44:45], v[44:45], v[48:49]
	v_add_f64 v[18:19], v[18:19], v[22:23]
	v_mul_f64 v[30:31], v[230:231], s[34:35]
	v_fma_f64 v[36:37], v[154:155], s[2:3], -v[34:35]
	;; [unrolled: 4-line block ×5, first 2 shown]
	v_add_f64 v[26:27], v[26:27], v[32:33]
	v_add_f64 v[2:3], v[0:1], v[2:3]
	v_fma_f64 v[0:1], v[144:145], s[16:17], -v[10:11]
	v_add_f64 v[18:19], v[18:19], v[26:27]
	v_add_f64 v[0:1], v[0:1], v[18:19]
	v_fma_f64 v[18:19], v[134:135], s[28:29], -v[20:21]
	v_fma_f64 v[20:21], v[138:139], s[0:1], -v[24:25]
	;; [unrolled: 1-line block ×3, first 2 shown]
	v_add_f64 v[24:25], v[250:251], v[24:25]
	v_add_f64 v[20:21], v[20:21], v[24:25]
	;; [unrolled: 1-line block ×7, first 2 shown]
	v_fmac_f64_e32 v[46:47], s[36:37], v[164:165]
	v_add_f64 v[6:7], v[4:5], v[6:7]
	v_add_f64 v[4:5], v[248:249], v[46:47]
	v_fmac_f64_e32 v[38:39], s[28:29], v[156:157]
	v_add_f64 v[4:5], v[42:43], v[4:5]
	v_mul_f64 v[36:37], v[190:191], s[38:39]
	v_fmac_f64_e32 v[34:35], s[2:3], v[154:155]
	v_add_f64 v[4:5], v[38:39], v[4:5]
	v_mul_f64 v[32:33], v[188:189], s[40:41]
	v_fma_f64 v[38:39], s[28:29], v[142:143], v[36:37]
	v_mul_f64 v[162:163], v[246:247], s[38:39]
	v_fmac_f64_e32 v[30:31], s[24:25], v[152:153]
	v_add_f64 v[4:5], v[34:35], v[4:5]
	v_mul_f64 v[28:29], v[166:167], s[22:23]
	v_fma_f64 v[34:35], s[12:13], v[138:139], v[32:33]
	v_add_f64 v[38:39], v[250:251], v[38:39]
	v_fma_f64 v[168:169], v[164:165], s[28:29], -v[162:163]
	v_add_f64 v[4:5], v[30:31], v[4:5]
	v_mul_f64 v[24:25], v[148:149], s[52:53]
	v_fma_f64 v[30:31], s[16:17], v[134:135], v[28:29]
	v_add_f64 v[34:35], v[34:35], v[38:39]
	v_mul_f64 v[46:47], v[242:243], s[22:23]
	v_add_f64 v[168:169], v[248:249], v[168:169]
	v_fmac_f64_e32 v[22:23], s[12:13], v[150:151]
	v_mul_f64 v[20:21], v[140:141], s[6:7]
	v_fma_f64 v[26:27], s[24:25], v[130:131], v[24:25]
	v_add_f64 v[30:31], v[30:31], v[34:35]
	v_mul_f64 v[42:43], v[240:241], s[52:53]
	v_fma_f64 v[48:49], v[156:157], s[16:17], -v[46:47]
	v_add_f64 v[160:161], v[160:161], v[168:169]
	v_fmac_f64_e32 v[14:15], s[20:21], v[146:147]
	v_add_f64 v[4:5], v[22:23], v[4:5]
	v_mul_f64 v[16:17], v[136:137], s[42:43]
	v_fma_f64 v[22:23], s[0:1], v[124:125], v[20:21]
	v_add_f64 v[26:27], v[26:27], v[30:31]
	v_mul_f64 v[38:39], v[230:231], s[6:7]
	v_fma_f64 v[44:45], v[154:155], s[24:25], -v[42:43]
	v_add_f64 v[48:49], v[48:49], v[160:161]
	v_fmac_f64_e32 v[10:11], s[16:17], v[144:145]
	v_add_f64 v[4:5], v[14:15], v[4:5]
	v_mul_f64 v[14:15], v[132:133], s[46:47]
	v_fma_f64 v[18:19], s[36:37], v[118:119], v[16:17]
	v_add_f64 v[22:23], v[22:23], v[26:27]
	v_mul_f64 v[30:31], v[228:229], s[42:43]
	v_fma_f64 v[40:41], v[152:153], s[0:1], -v[38:39]
	v_add_f64 v[44:45], v[44:45], v[48:49]
	v_add_f64 v[4:5], v[10:11], v[4:5]
	v_mul_f64 v[12:13], v[126:127], s[26:27]
	v_fma_f64 v[10:11], s[2:3], v[110:111], v[14:15]
	v_add_f64 v[18:19], v[18:19], v[22:23]
	v_mul_f64 v[22:23], v[206:207], s[46:47]
	v_fma_f64 v[34:35], v[150:151], s[36:37], -v[30:31]
	v_add_f64 v[40:41], v[40:41], v[44:45]
	v_fma_f64 v[8:9], s[20:21], v[100:101], v[12:13]
	v_add_f64 v[10:11], v[10:11], v[18:19]
	v_mul_f64 v[18:19], v[204:205], s[26:27]
	v_fma_f64 v[26:27], v[146:147], s[2:3], -v[22:23]
	v_add_f64 v[34:35], v[34:35], v[40:41]
	v_add_f64 v[10:11], v[8:9], v[10:11]
	v_fma_f64 v[8:9], v[144:145], s[20:21], -v[18:19]
	v_add_f64 v[26:27], v[26:27], v[34:35]
	v_add_f64 v[8:9], v[8:9], v[26:27]
	v_fma_f64 v[26:27], v[134:135], s[16:17], -v[28:29]
	v_fma_f64 v[28:29], v[138:139], s[12:13], -v[32:33]
	;; [unrolled: 1-line block ×3, first 2 shown]
	v_add_f64 v[32:33], v[250:251], v[32:33]
	v_add_f64 v[28:29], v[28:29], v[32:33]
	v_fma_f64 v[24:25], v[130:131], s[24:25], -v[24:25]
	v_add_f64 v[26:27], v[26:27], v[28:29]
	v_fma_f64 v[20:21], v[124:125], s[0:1], -v[20:21]
	;; [unrolled: 2-line block ×5, first 2 shown]
	v_add_f64 v[14:15], v[14:15], v[16:17]
	v_fmac_f64_e32 v[162:163], s[28:29], v[164:165]
	v_add_f64 v[14:15], v[12:13], v[14:15]
	v_add_f64 v[12:13], v[248:249], v[162:163]
	v_fmac_f64_e32 v[46:47], s[16:17], v[156:157]
	v_add_f64 v[12:13], v[50:51], v[12:13]
	v_mul_f64 v[44:45], v[190:191], s[34:35]
	v_fmac_f64_e32 v[42:43], s[24:25], v[154:155]
	v_add_f64 v[12:13], v[46:47], v[12:13]
	v_mul_f64 v[40:41], v[188:189], s[44:45]
	v_fma_f64 v[46:47], s[24:25], v[142:143], v[44:45]
	v_mul_f64 v[176:177], v[246:247], s[34:35]
	v_fmac_f64_e32 v[38:39], s[0:1], v[152:153]
	v_add_f64 v[12:13], v[42:43], v[12:13]
	v_mul_f64 v[36:37], v[166:167], s[6:7]
	v_fma_f64 v[42:43], s[20:21], v[138:139], v[40:41]
	v_add_f64 v[46:47], v[250:251], v[46:47]
	v_fma_f64 v[178:179], v[164:165], s[24:25], -v[176:177]
	v_add_f64 v[12:13], v[38:39], v[12:13]
	v_mul_f64 v[32:33], v[148:149], s[38:39]
	v_fma_f64 v[38:39], s[0:1], v[134:135], v[36:37]
	v_add_f64 v[42:43], v[42:43], v[46:47]
	v_mul_f64 v[162:163], v[242:243], s[6:7]
	v_add_f64 v[178:179], v[248:249], v[178:179]
	v_fmac_f64_e32 v[30:31], s[36:37], v[150:151]
	v_mul_f64 v[28:29], v[140:141], s[54:55]
	v_fma_f64 v[34:35], s[28:29], v[130:131], v[32:33]
	v_add_f64 v[38:39], v[38:39], v[42:43]
	v_mul_f64 v[50:51], v[240:241], s[38:39]
	v_fma_f64 v[168:169], v[156:157], s[0:1], -v[162:163]
	v_add_f64 v[174:175], v[174:175], v[178:179]
	v_fmac_f64_e32 v[22:23], s[2:3], v[146:147]
	v_add_f64 v[12:13], v[30:31], v[12:13]
	v_mul_f64 v[24:25], v[136:137], s[14:15]
	v_fma_f64 v[30:31], s[16:17], v[124:125], v[28:29]
	v_add_f64 v[34:35], v[34:35], v[38:39]
	v_mul_f64 v[46:47], v[230:231], s[54:55]
	v_fma_f64 v[160:161], v[154:155], s[28:29], -v[50:51]
	v_add_f64 v[168:169], v[168:169], v[174:175]
	v_fmac_f64_e32 v[18:19], s[20:21], v[144:145]
	v_add_f64 v[12:13], v[22:23], v[12:13]
	v_mul_f64 v[22:23], v[132:133], s[42:43]
	v_fma_f64 v[26:27], s[2:3], v[118:119], v[24:25]
	v_add_f64 v[30:31], v[30:31], v[34:35]
	v_mul_f64 v[38:39], v[228:229], s[14:15]
	v_fma_f64 v[48:49], v[152:153], s[16:17], -v[46:47]
	v_add_f64 v[160:161], v[160:161], v[168:169]
	v_add_f64 v[12:13], v[18:19], v[12:13]
	v_mul_f64 v[20:21], v[126:127], s[40:41]
	v_fma_f64 v[18:19], s[36:37], v[110:111], v[22:23]
	v_add_f64 v[26:27], v[26:27], v[30:31]
	v_mul_f64 v[30:31], v[206:207], s[42:43]
	v_fma_f64 v[42:43], v[150:151], s[2:3], -v[38:39]
	v_add_f64 v[48:49], v[48:49], v[160:161]
	v_fma_f64 v[16:17], s[12:13], v[100:101], v[20:21]
	v_add_f64 v[18:19], v[18:19], v[26:27]
	v_mul_f64 v[26:27], v[204:205], s[40:41]
	v_fma_f64 v[34:35], v[146:147], s[36:37], -v[30:31]
	v_add_f64 v[42:43], v[42:43], v[48:49]
	v_add_f64 v[18:19], v[16:17], v[18:19]
	v_fma_f64 v[16:17], v[144:145], s[12:13], -v[26:27]
	v_add_f64 v[34:35], v[34:35], v[42:43]
	v_add_f64 v[16:17], v[16:17], v[34:35]
	v_fma_f64 v[34:35], v[134:135], s[0:1], -v[36:37]
	v_fma_f64 v[36:37], v[138:139], s[20:21], -v[40:41]
	;; [unrolled: 1-line block ×3, first 2 shown]
	v_add_f64 v[40:41], v[250:251], v[40:41]
	v_add_f64 v[36:37], v[36:37], v[40:41]
	v_fma_f64 v[32:33], v[130:131], s[28:29], -v[32:33]
	v_add_f64 v[34:35], v[34:35], v[36:37]
	v_fma_f64 v[28:29], v[124:125], s[16:17], -v[28:29]
	;; [unrolled: 2-line block ×5, first 2 shown]
	v_add_f64 v[22:23], v[22:23], v[24:25]
	v_fmac_f64_e32 v[176:177], s[24:25], v[164:165]
	v_add_f64 v[22:23], v[20:21], v[22:23]
	v_add_f64 v[20:21], v[248:249], v[176:177]
	v_fmac_f64_e32 v[162:163], s[0:1], v[156:157]
	v_add_f64 v[20:21], v[172:173], v[20:21]
	v_mul_f64 v[160:161], v[190:191], s[26:27]
	v_fmac_f64_e32 v[50:51], s[28:29], v[154:155]
	v_add_f64 v[20:21], v[162:163], v[20:21]
	v_mul_f64 v[48:49], v[188:189], s[48:49]
	v_fma_f64 v[162:163], s[20:21], v[142:143], v[160:161]
	v_mul_f64 v[208:209], v[246:247], s[26:27]
	v_fmac_f64_e32 v[46:47], s[16:17], v[152:153]
	v_add_f64 v[20:21], v[50:51], v[20:21]
	v_mul_f64 v[44:45], v[166:167], s[46:47]
	v_fma_f64 v[50:51], s[28:29], v[138:139], v[48:49]
	v_add_f64 v[162:163], v[250:251], v[162:163]
	v_fma_f64 v[252:253], v[164:165], s[20:21], -v[208:209]
	v_add_f64 v[20:21], v[46:47], v[20:21]
	v_mul_f64 v[40:41], v[148:149], s[18:19]
	v_fma_f64 v[46:47], s[2:3], v[134:135], v[44:45]
	v_add_f64 v[50:51], v[50:51], v[162:163]
	v_mul_f64 v[176:177], v[242:243], s[46:47]
	v_add_f64 v[252:253], v[248:249], v[252:253]
	v_fmac_f64_e32 v[38:39], s[2:3], v[150:151]
	v_mul_f64 v[36:37], v[140:141], s[42:43]
	v_fma_f64 v[42:43], s[12:13], v[130:131], v[40:41]
	v_add_f64 v[46:47], v[46:47], v[50:51]
	v_mul_f64 v[172:173], v[240:241], s[18:19]
	v_fma_f64 v[178:179], v[156:157], s[2:3], -v[176:177]
	v_add_f64 v[186:187], v[186:187], v[252:253]
	v_fmac_f64_e32 v[30:31], s[36:37], v[146:147]
	v_add_f64 v[20:21], v[38:39], v[20:21]
	v_mul_f64 v[32:33], v[136:137], s[54:55]
	v_fma_f64 v[38:39], s[36:37], v[124:125], v[36:37]
	v_add_f64 v[42:43], v[42:43], v[46:47]
	v_mul_f64 v[162:163], v[230:231], s[42:43]
	v_fma_f64 v[174:175], v[154:155], s[12:13], -v[172:173]
	v_add_f64 v[178:179], v[178:179], v[186:187]
	v_fmac_f64_e32 v[26:27], s[12:13], v[144:145]
	v_add_f64 v[20:21], v[30:31], v[20:21]
	v_mul_f64 v[30:31], v[132:133], s[6:7]
	v_fma_f64 v[34:35], s[16:17], v[118:119], v[32:33]
	v_add_f64 v[38:39], v[38:39], v[42:43]
	v_mul_f64 v[46:47], v[228:229], s[54:55]
	v_fma_f64 v[168:169], v[152:153], s[36:37], -v[162:163]
	v_add_f64 v[174:175], v[174:175], v[178:179]
	v_add_f64 v[20:21], v[26:27], v[20:21]
	v_mul_f64 v[28:29], v[126:127], s[34:35]
	v_fma_f64 v[26:27], s[0:1], v[110:111], v[30:31]
	v_add_f64 v[34:35], v[34:35], v[38:39]
	v_mul_f64 v[38:39], v[206:207], s[6:7]
	v_fma_f64 v[50:51], v[150:151], s[16:17], -v[46:47]
	v_add_f64 v[168:169], v[168:169], v[174:175]
	v_fma_f64 v[24:25], s[24:25], v[100:101], v[28:29]
	v_add_f64 v[26:27], v[26:27], v[34:35]
	v_mul_f64 v[34:35], v[204:205], s[34:35]
	v_fma_f64 v[42:43], v[146:147], s[0:1], -v[38:39]
	v_add_f64 v[50:51], v[50:51], v[168:169]
	v_add_f64 v[26:27], v[24:25], v[26:27]
	v_fma_f64 v[24:25], v[144:145], s[24:25], -v[34:35]
	v_add_f64 v[42:43], v[42:43], v[50:51]
	v_add_f64 v[24:25], v[24:25], v[42:43]
	v_fma_f64 v[42:43], v[134:135], s[2:3], -v[44:45]
	v_fma_f64 v[44:45], v[138:139], s[28:29], -v[48:49]
	;; [unrolled: 1-line block ×3, first 2 shown]
	v_add_f64 v[48:49], v[250:251], v[48:49]
	v_add_f64 v[44:45], v[44:45], v[48:49]
	v_fma_f64 v[40:41], v[130:131], s[12:13], -v[40:41]
	v_add_f64 v[42:43], v[42:43], v[44:45]
	v_fma_f64 v[36:37], v[124:125], s[36:37], -v[36:37]
	;; [unrolled: 2-line block ×5, first 2 shown]
	v_add_f64 v[30:31], v[30:31], v[32:33]
	v_fmac_f64_e32 v[208:209], s[20:21], v[164:165]
	v_add_f64 v[30:31], v[28:29], v[30:31]
	v_add_f64 v[28:29], v[248:249], v[208:209]
	v_fmac_f64_e32 v[176:177], s[2:3], v[156:157]
	v_add_f64 v[28:29], v[184:185], v[28:29]
	v_mul_f64 v[174:175], v[190:191], s[22:23]
	v_fmac_f64_e32 v[172:173], s[12:13], v[154:155]
	v_add_f64 v[28:29], v[176:177], v[28:29]
	v_mul_f64 v[168:169], v[188:189], s[42:43]
	v_fma_f64 v[176:177], s[16:17], v[142:143], v[174:175]
	v_mul_f64 v[194:195], v[246:247], s[22:23]
	v_fmac_f64_e32 v[162:163], s[36:37], v[152:153]
	v_add_f64 v[28:29], v[172:173], v[28:29]
	v_mul_f64 v[160:161], v[166:167], s[44:45]
	v_fma_f64 v[172:173], s[36:37], v[138:139], v[168:169]
	v_add_f64 v[176:177], v[250:251], v[176:177]
	v_fma_f64 v[196:197], v[164:165], s[16:17], -v[194:195]
	v_add_f64 v[28:29], v[162:163], v[28:29]
	v_mul_f64 v[48:49], v[148:149], s[30:31]
	v_fma_f64 v[162:163], s[20:21], v[134:135], v[160:161]
	v_add_f64 v[172:173], v[172:173], v[176:177]
	v_mul_f64 v[208:209], v[242:243], s[44:45]
	v_fma_f64 v[192:193], v[158:159], s[36:37], -v[254:255]
	v_add_f64 v[196:197], v[248:249], v[196:197]
	v_fmac_f64_e32 v[46:47], s[16:17], v[150:151]
	v_mul_f64 v[44:45], v[140:141], s[18:19]
	v_fma_f64 v[50:51], s[0:1], v[130:131], v[48:49]
	v_add_f64 v[162:163], v[162:163], v[172:173]
	v_mul_f64 v[184:185], v[240:241], s[30:31]
	v_fma_f64 v[252:253], v[156:157], s[20:21], -v[208:209]
	v_add_f64 v[192:193], v[192:193], v[196:197]
	v_fmac_f64_e32 v[38:39], s[0:1], v[146:147]
	v_add_f64 v[28:29], v[46:47], v[28:29]
	v_mul_f64 v[40:41], v[136:137], s[38:39]
	v_fma_f64 v[46:47], s[12:13], v[124:125], v[44:45]
	v_add_f64 v[50:51], v[50:51], v[162:163]
	v_mul_f64 v[176:177], v[230:231], s[18:19]
	v_fma_f64 v[186:187], v[154:155], s[0:1], -v[184:185]
	v_add_f64 v[192:193], v[252:253], v[192:193]
	v_fmac_f64_e32 v[34:35], s[24:25], v[144:145]
	v_add_f64 v[28:29], v[38:39], v[28:29]
	v_mul_f64 v[38:39], v[132:133], s[52:53]
	v_fma_f64 v[42:43], s[28:29], v[118:119], v[40:41]
	v_add_f64 v[46:47], v[46:47], v[50:51]
	v_mul_f64 v[162:163], v[228:229], s[38:39]
	v_fma_f64 v[178:179], v[152:153], s[12:13], -v[176:177]
	v_add_f64 v[186:187], v[186:187], v[192:193]
	v_add_f64 v[28:29], v[34:35], v[28:29]
	v_mul_f64 v[36:37], v[126:127], s[46:47]
	v_fma_f64 v[34:35], s[24:25], v[110:111], v[38:39]
	v_add_f64 v[42:43], v[42:43], v[46:47]
	v_mul_f64 v[46:47], v[206:207], s[52:53]
	v_fma_f64 v[172:173], v[150:151], s[28:29], -v[162:163]
	v_add_f64 v[178:179], v[178:179], v[186:187]
	v_fma_f64 v[32:33], s[2:3], v[100:101], v[36:37]
	v_add_f64 v[34:35], v[34:35], v[42:43]
	v_mul_f64 v[42:43], v[204:205], s[46:47]
	v_fma_f64 v[50:51], v[146:147], s[24:25], -v[46:47]
	v_add_f64 v[172:173], v[172:173], v[178:179]
	v_add_f64 v[34:35], v[32:33], v[34:35]
	v_fma_f64 v[32:33], v[144:145], s[2:3], -v[42:43]
	v_add_f64 v[50:51], v[50:51], v[172:173]
	v_add_f64 v[32:33], v[32:33], v[50:51]
	v_fma_f64 v[50:51], v[134:135], s[20:21], -v[160:161]
	v_fma_f64 v[160:161], v[138:139], s[36:37], -v[168:169]
	;; [unrolled: 1-line block ×3, first 2 shown]
	v_add_f64 v[168:169], v[250:251], v[168:169]
	v_add_f64 v[160:161], v[160:161], v[168:169]
	v_fma_f64 v[48:49], v[130:131], s[0:1], -v[48:49]
	v_add_f64 v[50:51], v[50:51], v[160:161]
	v_fma_f64 v[44:45], v[124:125], s[12:13], -v[44:45]
	;; [unrolled: 2-line block ×5, first 2 shown]
	v_add_f64 v[38:39], v[38:39], v[40:41]
	v_fmac_f64_e32 v[194:195], s[16:17], v[164:165]
	v_add_f64 v[38:39], v[36:37], v[38:39]
	v_fmac_f64_e32 v[254:255], s[36:37], v[158:159]
	;; [unrolled: 2-line block ×3, first 2 shown]
	v_add_f64 v[36:37], v[254:255], v[36:37]
	v_mul_f64 v[186:187], v[190:191], s[18:19]
	v_fmac_f64_e32 v[184:185], s[0:1], v[154:155]
	v_add_f64 v[36:37], v[208:209], v[36:37]
	v_mul_f64 v[178:179], v[188:189], s[34:35]
	v_fma_f64 v[192:193], s[12:13], v[142:143], v[186:187]
	v_mul_f64 v[202:203], v[246:247], s[18:19]
	v_fmac_f64_e32 v[176:177], s[12:13], v[152:153]
	v_add_f64 v[36:37], v[184:185], v[36:37]
	v_mul_f64 v[174:175], v[166:167], s[50:51]
	v_fma_f64 v[184:185], s[24:25], v[138:139], v[178:179]
	v_add_f64 v[192:193], v[250:251], v[192:193]
	v_mul_f64 v[254:255], v[244:245], s[34:35]
	v_fma_f64 v[180:181], v[164:165], s[12:13], -v[202:203]
	v_add_f64 v[36:37], v[176:177], v[36:37]
	v_mul_f64 v[168:169], v[148:149], s[44:45]
	v_fma_f64 v[176:177], s[36:37], v[134:135], v[174:175]
	v_add_f64 v[184:185], v[184:185], v[192:193]
	v_mul_f64 v[208:209], v[242:243], s[50:51]
	v_fma_f64 v[200:201], v[158:159], s[24:25], -v[254:255]
	v_add_f64 v[180:181], v[248:249], v[180:181]
	v_fmac_f64_e32 v[162:163], s[28:29], v[150:151]
	v_mul_f64 v[160:161], v[140:141], s[46:47]
	v_fma_f64 v[172:173], s[20:21], v[130:131], v[168:169]
	v_add_f64 v[176:177], v[176:177], v[184:185]
	v_mul_f64 v[196:197], v[240:241], s[44:45]
	v_fma_f64 v[252:253], v[156:157], s[36:37], -v[208:209]
	v_add_f64 v[180:181], v[200:201], v[180:181]
	v_fmac_f64_e32 v[46:47], s[24:25], v[146:147]
	v_add_f64 v[36:37], v[162:163], v[36:37]
	v_mul_f64 v[48:49], v[136:137], s[6:7]
	v_fma_f64 v[162:163], s[2:3], v[124:125], v[160:161]
	v_add_f64 v[172:173], v[172:173], v[176:177]
	v_mul_f64 v[192:193], v[230:231], s[46:47]
	v_fma_f64 v[198:199], v[154:155], s[20:21], -v[196:197]
	v_add_f64 v[180:181], v[252:253], v[180:181]
	v_fmac_f64_e32 v[42:43], s[2:3], v[144:145]
	v_add_f64 v[36:37], v[46:47], v[36:37]
	v_mul_f64 v[46:47], v[132:133], s[22:23]
	v_fma_f64 v[50:51], s[0:1], v[118:119], v[48:49]
	v_add_f64 v[162:163], v[162:163], v[172:173]
	v_mul_f64 v[176:177], v[228:229], s[6:7]
	v_fma_f64 v[194:195], v[152:153], s[2:3], -v[192:193]
	v_add_f64 v[180:181], v[198:199], v[180:181]
	v_add_f64 v[36:37], v[42:43], v[36:37]
	v_mul_f64 v[44:45], v[126:127], s[38:39]
	v_fma_f64 v[42:43], s[16:17], v[110:111], v[46:47]
	v_add_f64 v[50:51], v[50:51], v[162:163]
	v_mul_f64 v[172:173], v[206:207], s[22:23]
	v_fma_f64 v[184:185], v[150:151], s[0:1], -v[176:177]
	v_add_f64 v[180:181], v[194:195], v[180:181]
	v_fma_f64 v[40:41], s[28:29], v[100:101], v[44:45]
	v_add_f64 v[42:43], v[42:43], v[50:51]
	v_mul_f64 v[162:163], v[204:205], s[38:39]
	v_fma_f64 v[50:51], v[146:147], s[16:17], -v[172:173]
	v_add_f64 v[180:181], v[184:185], v[180:181]
	v_add_f64 v[42:43], v[40:41], v[42:43]
	v_fma_f64 v[40:41], v[144:145], s[28:29], -v[162:163]
	v_add_f64 v[50:51], v[50:51], v[180:181]
	v_add_f64 v[40:41], v[40:41], v[50:51]
	v_fma_f64 v[50:51], v[124:125], s[2:3], -v[160:161]
	v_fma_f64 v[160:161], v[130:131], s[20:21], -v[168:169]
	;; [unrolled: 1-line block ×5, first 2 shown]
	v_add_f64 v[178:179], v[250:251], v[178:179]
	v_add_f64 v[174:175], v[174:175], v[178:179]
	;; [unrolled: 1-line block ×4, first 2 shown]
	v_fma_f64 v[48:49], v[118:119], s[0:1], -v[48:49]
	v_add_f64 v[50:51], v[50:51], v[160:161]
	v_fma_f64 v[46:47], v[110:111], s[16:17], -v[46:47]
	v_add_f64 v[48:49], v[48:49], v[50:51]
	;; [unrolled: 2-line block ×3, first 2 shown]
	v_fmac_f64_e32 v[202:203], s[12:13], v[164:165]
	v_add_f64 v[50:51], v[44:45], v[46:47]
	v_fmac_f64_e32 v[254:255], s[24:25], v[158:159]
	v_add_f64 v[44:45], v[248:249], v[202:203]
	;; [unrolled: 2-line block ×4, first 2 shown]
	v_mul_f64 v[194:195], v[190:191], s[14:15]
	v_fmac_f64_e32 v[192:193], s[2:3], v[152:153]
	v_add_f64 v[44:45], v[196:197], v[44:45]
	v_mul_f64 v[186:187], v[188:189], s[22:23]
	v_fma_f64 v[196:197], s[2:3], v[142:143], v[194:195]
	v_mul_f64 v[214:215], v[246:247], s[14:15]
	v_add_f64 v[44:45], v[192:193], v[44:45]
	v_fma_f64 v[192:193], s[16:17], v[138:139], v[186:187]
	v_add_f64 v[196:197], v[250:251], v[196:197]
	v_mul_f64 v[254:255], v[244:245], s[22:23]
	v_fma_f64 v[216:217], v[164:165], s[2:3], -v[214:215]
	v_fmac_f64_e32 v[176:177], s[0:1], v[150:151]
	v_mul_f64 v[178:179], v[148:149], s[42:43]
	v_fma_f64 v[184:185], s[24:25], v[134:135], v[182:183]
	v_add_f64 v[192:193], v[192:193], v[196:197]
	v_mul_f64 v[208:209], v[242:243], s[34:35]
	v_fma_f64 v[212:213], v[158:159], s[16:17], -v[254:255]
	v_add_f64 v[216:217], v[248:249], v[216:217]
	v_fmac_f64_e32 v[172:173], s[16:17], v[146:147]
	v_add_f64 v[44:45], v[176:177], v[44:45]
	v_mul_f64 v[174:175], v[140:141], s[48:49]
	v_fma_f64 v[180:181], s[36:37], v[130:131], v[178:179]
	v_add_f64 v[184:185], v[184:185], v[192:193]
	v_mul_f64 v[200:201], v[240:241], s[42:43]
	v_fma_f64 v[252:253], v[156:157], s[24:25], -v[208:209]
	v_add_f64 v[212:213], v[212:213], v[216:217]
	v_fmac_f64_e32 v[162:163], s[28:29], v[144:145]
	v_add_f64 v[44:45], v[172:173], v[44:45]
	v_mul_f64 v[168:169], v[136:137], s[44:45]
	v_fma_f64 v[176:177], s[28:29], v[124:125], v[174:175]
	v_add_f64 v[180:181], v[180:181], v[184:185]
	v_mul_f64 v[196:197], v[230:231], s[48:49]
	v_fma_f64 v[202:203], v[154:155], s[36:37], -v[200:201]
	v_add_f64 v[212:213], v[252:253], v[212:213]
	v_add_f64 v[48:49], v[162:163], v[44:45]
	v_mul_f64 v[162:163], v[132:133], s[40:41]
	v_fma_f64 v[172:173], s[20:21], v[118:119], v[168:169]
	v_add_f64 v[176:177], v[176:177], v[180:181]
	v_mul_f64 v[184:185], v[228:229], s[44:45]
	v_fma_f64 v[198:199], v[152:153], s[28:29], -v[196:197]
	v_add_f64 v[202:203], v[202:203], v[212:213]
	v_mul_f64 v[160:161], v[126:127], s[30:31]
	v_fma_f64 v[46:47], s[12:13], v[110:111], v[162:163]
	v_add_f64 v[172:173], v[172:173], v[176:177]
	v_mul_f64 v[176:177], v[206:207], s[40:41]
	v_fma_f64 v[192:193], v[150:151], s[20:21], -v[184:185]
	v_add_f64 v[198:199], v[198:199], v[202:203]
	v_fma_f64 v[44:45], s[0:1], v[100:101], v[160:161]
	v_add_f64 v[46:47], v[46:47], v[172:173]
	v_mul_f64 v[172:173], v[204:205], s[30:31]
	v_fma_f64 v[180:181], v[146:147], s[12:13], -v[176:177]
	v_add_f64 v[192:193], v[192:193], v[198:199]
	v_add_f64 v[46:47], v[44:45], v[46:47]
	v_fma_f64 v[44:45], v[144:145], s[0:1], -v[172:173]
	v_add_f64 v[180:181], v[180:181], v[192:193]
	v_add_f64 v[44:45], v[44:45], v[180:181]
	v_fma_f64 v[180:181], v[134:135], s[24:25], -v[182:183]
	v_fma_f64 v[182:183], v[138:139], s[16:17], -v[186:187]
	;; [unrolled: 1-line block ×3, first 2 shown]
	v_add_f64 v[186:187], v[250:251], v[186:187]
	v_add_f64 v[182:183], v[182:183], v[186:187]
	v_fma_f64 v[178:179], v[130:131], s[36:37], -v[178:179]
	v_add_f64 v[180:181], v[180:181], v[182:183]
	v_fma_f64 v[174:175], v[124:125], s[28:29], -v[174:175]
	;; [unrolled: 2-line block ×5, first 2 shown]
	v_add_f64 v[162:163], v[162:163], v[168:169]
	v_fmac_f64_e32 v[214:215], s[2:3], v[164:165]
	v_add_f64 v[162:163], v[160:161], v[162:163]
	v_fmac_f64_e32 v[254:255], s[16:17], v[158:159]
	;; [unrolled: 2-line block ×6, first 2 shown]
	v_add_f64 v[160:161], v[196:197], v[160:161]
	v_mul_f64 v[186:187], v[190:191], s[6:7]
	v_fmac_f64_e32 v[176:177], s[12:13], v[146:147]
	v_add_f64 v[160:161], v[184:185], v[160:161]
	v_mul_f64 v[126:127], v[126:127], s[42:43]
	v_mul_f64 v[148:149], v[148:149], s[22:23]
	;; [unrolled: 1-line block ×4, first 2 shown]
	v_fma_f64 v[188:189], s[0:1], v[142:143], v[186:187]
	v_fmac_f64_e32 v[172:173], s[0:1], v[144:145]
	v_add_f64 v[160:161], v[176:177], v[160:161]
	v_fma_f64 v[168:169], s[36:37], v[100:101], v[126:127]
	v_mul_f64 v[132:133], v[132:133], s[38:39]
	v_fma_f64 v[178:179], s[16:17], v[130:131], v[148:149]
	v_fma_f64 v[166:167], s[12:13], v[134:135], v[180:181]
	;; [unrolled: 1-line block ×3, first 2 shown]
	v_add_f64 v[188:189], v[250:251], v[188:189]
	v_fma_f64 v[100:101], v[100:101], s[36:37], -v[126:127]
	v_fma_f64 v[126:127], v[130:131], s[16:17], -v[148:149]
	;; [unrolled: 1-line block ×4, first 2 shown]
	v_add_f64 v[160:161], v[172:173], v[160:161]
	v_fma_f64 v[172:173], s[28:29], v[110:111], v[132:133]
	v_add_f64 v[184:185], v[184:185], v[188:189]
	v_fma_f64 v[110:111], v[110:111], s[28:29], -v[132:133]
	v_fma_f64 v[132:133], v[138:139], s[2:3], -v[182:183]
	v_add_f64 v[134:135], v[250:251], v[134:135]
	v_mul_f64 v[140:141], v[140:141], s[26:27]
	v_add_f64 v[166:167], v[166:167], v[184:185]
	v_add_f64 v[132:133], v[132:133], v[134:135]
	v_mul_f64 v[136:137], v[136:137], s[34:35]
	v_fma_f64 v[176:177], s[20:21], v[124:125], v[140:141]
	v_add_f64 v[166:167], v[178:179], v[166:167]
	v_add_f64 v[130:131], v[130:131], v[132:133]
	v_fma_f64 v[174:175], s[24:25], v[118:119], v[136:137]
	v_add_f64 v[166:167], v[176:177], v[166:167]
	v_fma_f64 v[124:125], v[124:125], s[20:21], -v[140:141]
	v_add_f64 v[126:127], v[126:127], v[130:131]
	v_add_f64 v[166:167], v[174:175], v[166:167]
	v_fma_f64 v[118:119], v[118:119], s[24:25], -v[136:137]
	v_add_f64 v[124:125], v[124:125], v[126:127]
	v_add_f64 v[166:167], v[172:173], v[166:167]
	v_mul_f64 v[172:173], v[204:205], s[42:43]
	v_mul_f64 v[204:205], v[246:247], s[6:7]
	v_add_f64 v[118:119], v[118:119], v[124:125]
	v_mul_f64 v[174:175], v[206:207], s[38:39]
	v_mul_f64 v[200:201], v[244:245], s[14:15]
	v_fma_f64 v[206:207], v[164:165], s[0:1], -v[204:205]
	v_add_f64 v[110:111], v[110:111], v[118:119]
	v_fmac_f64_e32 v[204:205], s[0:1], v[164:165]
	v_mul_f64 v[196:197], v[242:243], s[18:19]
	v_fma_f64 v[202:203], v[158:159], s[2:3], -v[200:201]
	v_add_f64 v[126:127], v[100:101], v[110:111]
	v_fmac_f64_e32 v[200:201], s[2:3], v[158:159]
	v_add_f64 v[100:101], v[248:249], v[204:205]
	v_mul_f64 v[192:193], v[240:241], s[22:23]
	v_fma_f64 v[198:199], v[156:157], s[12:13], -v[196:197]
	v_fmac_f64_e32 v[196:197], s[12:13], v[156:157]
	v_add_f64 v[100:101], v[200:201], v[100:101]
	v_mul_f64 v[188:189], v[230:231], s[26:27]
	v_fma_f64 v[194:195], v[154:155], s[16:17], -v[192:193]
	;; [unrolled: 4-line block ×3, first 2 shown]
	v_fmac_f64_e32 v[188:189], s[20:21], v[152:153]
	v_add_f64 v[100:101], v[192:193], v[100:101]
	v_fma_f64 v[184:185], v[150:151], s[24:25], -v[178:179]
	v_fmac_f64_e32 v[178:179], s[24:25], v[150:151]
	v_add_f64 v[100:101], v[188:189], v[100:101]
	v_fma_f64 v[176:177], v[146:147], s[28:29], -v[174:175]
	v_fmac_f64_e32 v[174:175], s[28:29], v[146:147]
	v_add_f64 v[100:101], v[178:179], v[100:101]
	v_add_f64 v[168:169], v[168:169], v[166:167]
	v_fma_f64 v[166:167], v[144:145], s[36:37], -v[172:173]
	v_fmac_f64_e32 v[172:173], s[36:37], v[144:145]
	v_add_f64 v[100:101], v[174:175], v[100:101]
	v_add_f64 v[124:125], v[172:173], v[100:101]
	;; [unrolled: 1-line block ×27, first 2 shown]
	buffer_load_dword v52, off, s[60:63], 0 offset:340 ; 4-byte Folded Reload
	v_add_f64 v[206:207], v[248:249], v[206:207]
	v_add_f64 v[60:61], v[60:61], v[68:69]
	;; [unrolled: 1-line block ×11, first 2 shown]
	v_accvgpr_read_b32 v203, a7
	v_accvgpr_read_b32 v199, a3
	v_add_f64 v[60:61], v[60:61], v[116:117]
	v_accvgpr_read_b32 v217, a9
	v_accvgpr_read_b32 v216, a8
	v_add_f64 v[176:177], v[176:177], v[184:185]
	v_accvgpr_read_b32 v202, a6
	v_accvgpr_read_b32 v201, a5
	;; [unrolled: 1-line block ×6, first 2 shown]
	v_add_f64 v[60:61], v[60:61], v[122:123]
	v_add_f64 v[166:167], v[166:167], v[176:177]
	s_waitcnt vmcnt(0)
	v_and_b32_e32 v52, 0xff, v52
	v_lshl_add_u32 v52, v52, 4, v211
	ds_write_b128 v52, v[58:61] offset:7616
	ds_write_b128 v52, v[124:127] offset:7728
	;; [unrolled: 1-line block ×17, first 2 shown]
.LBB0_9:
	s_or_b64 exec, exec, s[56:57]
	s_waitcnt lgkmcnt(0)
	; wave barrier
	s_waitcnt lgkmcnt(0)
	ds_read_b128 v[4:7], v210 offset:1904
	ds_read_b128 v[0:3], v210 offset:1632
	v_accvgpr_read_b32 v8, a128
	v_accvgpr_read_b32 v10, a130
	;; [unrolled: 1-line block ×4, first 2 shown]
	s_waitcnt lgkmcnt(1)
	v_mul_f64 v[158:159], v[10:11], v[6:7]
	v_fmac_f64_e32 v[158:159], v[8:9], v[4:5]
	v_mul_f64 v[4:5], v[10:11], v[4:5]
	v_fma_f64 v[156:157], v[8:9], v[6:7], -v[4:5]
	ds_read_b128 v[4:7], v210 offset:3808
	ds_read_b128 v[8:11], v210 offset:4080
	v_accvgpr_read_b32 v12, a12
	v_accvgpr_read_b32 v14, a14
	;; [unrolled: 1-line block ×4, first 2 shown]
	s_waitcnt lgkmcnt(1)
	v_mul_f64 v[166:167], v[14:15], v[6:7]
	v_fmac_f64_e32 v[166:167], v[12:13], v[4:5]
	v_mul_f64 v[4:5], v[14:15], v[4:5]
	v_fma_f64 v[164:165], v[12:13], v[6:7], -v[4:5]
	ds_read_b128 v[4:7], v210 offset:5712
	ds_read_b128 v[12:15], v210 offset:5440
	v_accvgpr_read_b32 v24, a120
	v_accvgpr_read_b32 v26, a122
	;; [unrolled: 1-line block ×3, first 2 shown]
	s_waitcnt lgkmcnt(1)
	v_mul_f64 v[190:191], v[202:203], v[6:7]
	v_fmac_f64_e32 v[190:191], v[200:201], v[4:5]
	v_mul_f64 v[4:5], v[202:203], v[4:5]
	v_fma_f64 v[188:189], v[200:201], v[6:7], -v[4:5]
	ds_read_b128 v[4:7], v210 offset:7616
	ds_read_b128 v[16:19], v210 offset:7888
	v_accvgpr_read_b32 v25, a121
	s_mov_b32 s2, 0x134454ff
	s_mov_b32 s3, 0xbfee6f0e
	s_waitcnt lgkmcnt(1)
	v_mul_f64 v[206:207], v[198:199], v[6:7]
	v_fmac_f64_e32 v[206:207], v[196:197], v[4:5]
	v_mul_f64 v[4:5], v[198:199], v[4:5]
	v_fma_f64 v[204:205], v[196:197], v[6:7], -v[4:5]
	ds_read_b128 v[4:7], v210 offset:2176
	ds_read_b128 v[20:23], v210 offset:2448
	s_mov_b32 s0, 0x4755a5e
	v_add_f64 v[136:137], v[156:157], -v[204:205]
	s_mov_b32 s13, 0x3fee6f0e
	s_waitcnt lgkmcnt(1)
	v_mul_f64 v[82:83], v[26:27], v[6:7]
	v_fmac_f64_e32 v[82:83], v[24:25], v[4:5]
	v_mul_f64 v[4:5], v[26:27], v[4:5]
	v_fma_f64 v[80:81], v[24:25], v[6:7], -v[4:5]
	v_accvgpr_read_b32 v24, a136
	v_accvgpr_read_b32 v26, a138
	;; [unrolled: 1-line block ×4, first 2 shown]
	v_mul_f64 v[118:119], v[26:27], v[10:11]
	v_mul_f64 v[4:5], v[26:27], v[8:9]
	v_fmac_f64_e32 v[118:119], v[24:25], v[8:9]
	v_fma_f64 v[116:117], v[24:25], v[10:11], -v[4:5]
	ds_read_b128 v[4:7], v210 offset:5984
	ds_read_b128 v[8:11], v210 offset:6256
	v_accvgpr_read_b32 v24, a116
	v_accvgpr_read_b32 v26, a118
	;; [unrolled: 1-line block ×4, first 2 shown]
	s_waitcnt lgkmcnt(1)
	v_mul_f64 v[122:123], v[26:27], v[6:7]
	v_fmac_f64_e32 v[122:123], v[24:25], v[4:5]
	v_mul_f64 v[4:5], v[26:27], v[4:5]
	v_fma_f64 v[120:121], v[24:25], v[6:7], -v[4:5]
	v_accvgpr_read_b32 v24, a132
	v_accvgpr_read_b32 v26, a134
	;; [unrolled: 1-line block ×4, first 2 shown]
	v_mul_f64 v[126:127], v[26:27], v[18:19]
	v_mul_f64 v[4:5], v[26:27], v[16:17]
	v_fmac_f64_e32 v[126:127], v[24:25], v[16:17]
	v_fma_f64 v[124:125], v[24:25], v[18:19], -v[4:5]
	v_accvgpr_read_b32 v16, a152
	v_accvgpr_read_b32 v18, a154
	;; [unrolled: 1-line block ×4, first 2 shown]
	v_mul_f64 v[32:33], v[18:19], v[22:23]
	v_mul_f64 v[4:5], v[18:19], v[20:21]
	v_fmac_f64_e32 v[32:33], v[16:17], v[20:21]
	v_fma_f64 v[28:29], v[16:17], v[22:23], -v[4:5]
	ds_read_b128 v[4:7], v210 offset:4352
	ds_read_b128 v[16:19], v210 offset:4624
	v_accvgpr_read_b32 v20, a144
	v_accvgpr_read_b32 v22, a146
	;; [unrolled: 1-line block ×4, first 2 shown]
	s_waitcnt lgkmcnt(1)
	v_mul_f64 v[44:45], v[22:23], v[6:7]
	v_fmac_f64_e32 v[44:45], v[20:21], v[4:5]
	v_mul_f64 v[4:5], v[22:23], v[4:5]
	v_fma_f64 v[30:31], v[20:21], v[6:7], -v[4:5]
	v_accvgpr_read_b32 v20, a148
	v_accvgpr_read_b32 v22, a150
	;; [unrolled: 1-line block ×4, first 2 shown]
	v_mul_f64 v[112:113], v[22:23], v[10:11]
	v_mul_f64 v[4:5], v[22:23], v[8:9]
	v_fmac_f64_e32 v[112:113], v[20:21], v[8:9]
	v_fma_f64 v[36:37], v[20:21], v[10:11], -v[4:5]
	ds_read_b128 v[4:7], v210 offset:8160
	ds_read_b128 v[8:11], v210 offset:8432
	v_accvgpr_read_b32 v20, a140
	v_accvgpr_read_b32 v22, a142
	;; [unrolled: 1-line block ×4, first 2 shown]
	s_waitcnt lgkmcnt(1)
	v_mul_f64 v[114:115], v[22:23], v[6:7]
	v_fmac_f64_e32 v[114:115], v[20:21], v[4:5]
	v_mul_f64 v[4:5], v[22:23], v[4:5]
	v_fma_f64 v[46:47], v[20:21], v[6:7], -v[4:5]
	ds_read_b128 v[4:7], v210 offset:2720
	ds_read_b128 v[20:23], v210 offset:2992
	v_accvgpr_read_b32 v24, a172
	v_accvgpr_read_b32 v26, a174
	;; [unrolled: 1-line block ×4, first 2 shown]
	s_waitcnt lgkmcnt(1)
	v_mul_f64 v[34:35], v[26:27], v[6:7]
	v_fmac_f64_e32 v[34:35], v[24:25], v[4:5]
	v_mul_f64 v[4:5], v[26:27], v[4:5]
	v_fma_f64 v[38:39], v[24:25], v[6:7], -v[4:5]
	v_accvgpr_read_b32 v24, a168
	v_accvgpr_read_b32 v26, a170
	;; [unrolled: 1-line block ×4, first 2 shown]
	v_mul_f64 v[48:49], v[26:27], v[18:19]
	v_mul_f64 v[4:5], v[26:27], v[16:17]
	v_fmac_f64_e32 v[48:49], v[24:25], v[16:17]
	v_fma_f64 v[40:41], v[24:25], v[18:19], -v[4:5]
	ds_read_b128 v[4:7], v210 offset:6528
	ds_read_b128 v[16:19], v210 offset:6800
	v_accvgpr_read_b32 v24, a160
	v_accvgpr_read_b32 v26, a162
	;; [unrolled: 1-line block ×4, first 2 shown]
	s_waitcnt lgkmcnt(1)
	v_mul_f64 v[60:61], v[26:27], v[6:7]
	v_fmac_f64_e32 v[60:61], v[24:25], v[4:5]
	v_mul_f64 v[4:5], v[26:27], v[4:5]
	v_fma_f64 v[42:43], v[24:25], v[6:7], -v[4:5]
	v_accvgpr_read_b32 v24, a164
	v_accvgpr_read_b32 v26, a166
	;; [unrolled: 1-line block ×4, first 2 shown]
	v_mul_f64 v[62:63], v[26:27], v[10:11]
	v_fmac_f64_e32 v[62:63], v[24:25], v[8:9]
	v_mul_f64 v[4:5], v[26:27], v[8:9]
	v_accvgpr_read_b32 v6, a188
	v_accvgpr_read_b32 v8, a190
	;; [unrolled: 1-line block ×3, first 2 shown]
	v_fma_f64 v[52:53], v[24:25], v[10:11], -v[4:5]
	v_accvgpr_read_b32 v7, a189
	v_mul_f64 v[50:51], v[8:9], v[22:23]
	v_mul_f64 v[4:5], v[8:9], v[20:21]
	v_fmac_f64_e32 v[50:51], v[6:7], v[20:21]
	v_fma_f64 v[54:55], v[6:7], v[22:23], -v[4:5]
	ds_read_b128 v[4:7], v210 offset:4896
	ds_read_b128 v[8:11], v210 offset:5168
	v_accvgpr_read_b32 v20, a192
	v_accvgpr_read_b32 v22, a194
	;; [unrolled: 1-line block ×4, first 2 shown]
	s_waitcnt lgkmcnt(1)
	v_mul_f64 v[64:65], v[22:23], v[6:7]
	v_fmac_f64_e32 v[64:65], v[20:21], v[4:5]
	v_mul_f64 v[4:5], v[22:23], v[4:5]
	v_fma_f64 v[56:57], v[20:21], v[6:7], -v[4:5]
	v_accvgpr_read_b32 v20, a180
	v_accvgpr_read_b32 v22, a182
	;; [unrolled: 1-line block ×4, first 2 shown]
	v_mul_f64 v[72:73], v[22:23], v[18:19]
	v_mul_f64 v[4:5], v[22:23], v[16:17]
	v_fmac_f64_e32 v[72:73], v[20:21], v[16:17]
	v_fma_f64 v[58:59], v[20:21], v[18:19], -v[4:5]
	ds_read_b128 v[4:7], v210 offset:8704
	ds_read_b128 v[16:19], v210 offset:8976
	v_accvgpr_read_b32 v20, a176
	v_accvgpr_read_b32 v22, a178
	;; [unrolled: 1-line block ×4, first 2 shown]
	s_waitcnt lgkmcnt(1)
	v_mul_f64 v[74:75], v[22:23], v[6:7]
	v_fmac_f64_e32 v[74:75], v[20:21], v[4:5]
	v_mul_f64 v[4:5], v[22:23], v[4:5]
	v_fma_f64 v[68:69], v[20:21], v[6:7], -v[4:5]
	ds_read_b128 v[4:7], v210 offset:3264
	ds_read_b128 v[20:23], v210 offset:3536
	v_accvgpr_read_b32 v24, a212
	v_accvgpr_read_b32 v26, a214
	;; [unrolled: 1-line block ×3, first 2 shown]
	s_waitcnt lgkmcnt(1)
	v_mul_f64 v[66:67], v[222:223], v[6:7]
	v_fmac_f64_e32 v[66:67], v[220:221], v[4:5]
	v_mul_f64 v[4:5], v[222:223], v[4:5]
	v_fma_f64 v[70:71], v[220:221], v[6:7], -v[4:5]
	v_accvgpr_read_b32 v25, a213
	v_mul_f64 v[92:93], v[26:27], v[10:11]
	v_mul_f64 v[4:5], v[26:27], v[8:9]
	v_fmac_f64_e32 v[92:93], v[24:25], v[8:9]
	v_fma_f64 v[84:85], v[24:25], v[10:11], -v[4:5]
	ds_read_b128 v[4:7], v210 offset:7072
	ds_read_b128 v[8:11], v210 offset:7344
	v_accvgpr_read_b32 v24, a204
	v_accvgpr_read_b32 v26, a206
	;; [unrolled: 1-line block ×4, first 2 shown]
	s_waitcnt lgkmcnt(1)
	v_mul_f64 v[108:109], v[26:27], v[6:7]
	v_fmac_f64_e32 v[108:109], v[24:25], v[4:5]
	v_mul_f64 v[4:5], v[26:27], v[4:5]
	v_fma_f64 v[88:89], v[24:25], v[6:7], -v[4:5]
	v_accvgpr_read_b32 v24, a196
	v_accvgpr_read_b32 v26, a198
	v_accvgpr_read_b32 v27, a199
	v_accvgpr_read_b32 v25, a197
	v_mul_f64 v[4:5], v[26:27], v[16:17]
	v_fma_f64 v[94:95], v[24:25], v[18:19], -v[4:5]
	v_mul_f64 v[4:5], v[238:239], v[20:21]
	v_fma_f64 v[90:91], v[236:237], v[22:23], -v[4:5]
	;; [unrolled: 2-line block ×3, first 2 shown]
	s_waitcnt lgkmcnt(0)
	v_mul_f64 v[4:5], v[226:227], v[8:9]
	v_fma_f64 v[98:99], v[224:225], v[10:11], -v[4:5]
	ds_read_b128 v[4:7], v210 offset:9248
	v_mul_f64 v[110:111], v[26:27], v[18:19]
	v_mul_f64 v[86:87], v[238:239], v[22:23]
	v_fmac_f64_e32 v[110:111], v[24:25], v[16:17]
	v_fmac_f64_e32 v[86:87], v[236:237], v[20:21]
	ds_read_b128 v[24:27], v210
	ds_read_b128 v[20:23], v210 offset:272
	s_waitcnt lgkmcnt(2)
	v_mul_f64 v[106:107], v[78:79], v[6:7]
	v_fmac_f64_e32 v[106:107], v[76:77], v[4:5]
	v_mul_f64 v[4:5], v[78:79], v[4:5]
	v_fma_f64 v[102:103], v[76:77], v[6:7], -v[4:5]
	s_waitcnt lgkmcnt(1)
	v_add_f64 v[4:5], v[24:25], v[158:159]
	v_add_f64 v[6:7], v[26:27], v[156:157]
	;; [unrolled: 1-line block ×8, first 2 shown]
	ds_write_b128 v210, v[4:7]
	v_add_f64 v[4:5], v[158:159], -v[166:167]
	v_add_f64 v[6:7], v[206:207], -v[190:191]
	v_add_f64 v[132:133], v[4:5], v[6:7]
	v_add_f64 v[4:5], v[166:167], v[190:191]
	v_fma_f64 v[76:77], -0.5, v[4:5], v[24:25]
	v_add_f64 v[4:5], v[164:165], v[188:189]
	v_fma_f64 v[78:79], -0.5, v[4:5], v[26:27]
	s_mov_b32 s12, s2
	v_add_f64 v[140:141], v[158:159], -v[206:207]
	v_add_f64 v[4:5], v[156:157], -v[164:165]
	;; [unrolled: 1-line block ×3, first 2 shown]
	s_mov_b32 s1, 0xbfe2cf23
	v_add_f64 v[138:139], v[164:165], -v[188:189]
	v_fma_f64 v[128:129], s[2:3], v[136:137], v[76:77]
	s_mov_b32 s6, 0x372fe950
	s_mov_b32 s15, 0x3fe2cf23
	;; [unrolled: 1-line block ×3, first 2 shown]
	v_fma_f64 v[130:131], s[12:13], v[140:141], v[78:79]
	v_add_f64 v[142:143], v[166:167], -v[190:191]
	v_add_f64 v[134:135], v[4:5], v[6:7]
	v_fmac_f64_e32 v[128:129], s[0:1], v[138:139]
	s_mov_b32 s7, 0x3fd3c6ef
	v_fmac_f64_e32 v[130:131], s[14:15], v[142:143]
	v_mul_f64 v[100:101], v[234:235], v[14:15]
	v_mul_f64 v[104:105], v[226:227], v[10:11]
	v_fmac_f64_e32 v[128:129], s[6:7], v[132:133]
	v_fmac_f64_e32 v[130:131], s[6:7], v[134:135]
	v_fmac_f64_e32 v[100:101], v[232:233], v[12:13]
	v_fmac_f64_e32 v[104:105], v[224:225], v[8:9]
	ds_read_b128 v[16:19], v210 offset:544
	ds_read_b128 v[12:15], v210 offset:816
	;; [unrolled: 1-line block ×4, first 2 shown]
	ds_write_b128 v170, v[128:131] offset:1904
	v_add_f64 v[128:129], v[158:159], v[206:207]
	v_fmac_f64_e32 v[24:25], -0.5, v[128:129]
	v_add_f64 v[128:129], v[166:167], -v[158:159]
	v_add_f64 v[130:131], v[190:191], -v[206:207]
	v_add_f64 v[144:145], v[128:129], v[130:131]
	v_add_f64 v[128:129], v[156:157], v[204:205]
	v_fmac_f64_e32 v[26:27], -0.5, v[128:129]
	v_add_f64 v[128:129], v[164:165], -v[156:157]
	v_add_f64 v[130:131], v[188:189], -v[204:205]
	v_add_f64 v[146:147], v[128:129], v[130:131]
	v_fma_f64 v[128:129], s[12:13], v[138:139], v[24:25]
	v_fma_f64 v[130:131], s[2:3], v[142:143], v[26:27]
	v_fmac_f64_e32 v[24:25], s[2:3], v[138:139]
	v_fmac_f64_e32 v[26:27], s[12:13], v[142:143]
	;; [unrolled: 1-line block ×6, first 2 shown]
	ds_write_b128 v170, v[24:27] offset:5712
	s_waitcnt lgkmcnt(7)
	v_add_f64 v[24:25], v[20:21], v[82:83]
	v_add_f64 v[26:27], v[22:23], v[80:81]
	v_fmac_f64_e32 v[76:77], s[12:13], v[136:137]
	v_fmac_f64_e32 v[78:79], s[2:3], v[140:141]
	v_add_f64 v[24:25], v[24:25], v[118:119]
	v_add_f64 v[26:27], v[26:27], v[116:117]
	v_fmac_f64_e32 v[128:129], s[0:1], v[136:137]
	v_fmac_f64_e32 v[130:131], s[14:15], v[140:141]
	v_fmac_f64_e32 v[76:77], s[14:15], v[138:139]
	v_fmac_f64_e32 v[78:79], s[0:1], v[142:143]
	v_add_f64 v[24:25], v[24:25], v[122:123]
	v_add_f64 v[26:27], v[26:27], v[120:121]
	v_fmac_f64_e32 v[128:129], s[6:7], v[144:145]
	v_fmac_f64_e32 v[130:131], s[6:7], v[146:147]
	;; [unrolled: 1-line block ×4, first 2 shown]
	v_add_f64 v[24:25], v[24:25], v[126:127]
	v_add_f64 v[26:27], v[26:27], v[124:125]
	ds_write_b128 v170, v[128:131] offset:3808
	ds_write_b128 v170, v[76:79] offset:7616
	ds_write_b128 v210, v[24:27] offset:272
	v_add_f64 v[24:25], v[82:83], -v[118:119]
	v_add_f64 v[26:27], v[126:127], -v[122:123]
	v_add_f64 v[128:129], v[24:25], v[26:27]
	v_add_f64 v[24:25], v[118:119], v[122:123]
	;; [unrolled: 1-line block ×3, first 2 shown]
	v_fma_f64 v[24:25], -0.5, v[24:25], v[20:21]
	v_fma_f64 v[26:27], -0.5, v[26:27], v[22:23]
	v_add_f64 v[76:77], v[80:81], -v[116:117]
	v_add_f64 v[78:79], v[124:125], -v[120:121]
	;; [unrolled: 1-line block ×4, first 2 shown]
	v_add_f64 v[130:131], v[76:77], v[78:79]
	v_add_f64 v[134:135], v[116:117], -v[120:121]
	v_fma_f64 v[76:77], s[2:3], v[132:133], v[24:25]
	v_fma_f64 v[78:79], s[12:13], v[136:137], v[26:27]
	v_add_f64 v[138:139], v[118:119], -v[122:123]
	v_fmac_f64_e32 v[76:77], s[0:1], v[134:135]
	v_fmac_f64_e32 v[78:79], s[14:15], v[138:139]
	;; [unrolled: 1-line block ×4, first 2 shown]
	ds_write_b128 v170, v[76:79] offset:2176
	v_add_f64 v[76:77], v[82:83], v[126:127]
	v_fmac_f64_e32 v[20:21], -0.5, v[76:77]
	v_add_f64 v[76:77], v[118:119], -v[82:83]
	v_add_f64 v[78:79], v[122:123], -v[126:127]
	v_add_f64 v[82:83], v[76:77], v[78:79]
	v_add_f64 v[76:77], v[80:81], v[124:125]
	v_fmac_f64_e32 v[22:23], -0.5, v[76:77]
	v_add_f64 v[76:77], v[116:117], -v[80:81]
	v_add_f64 v[78:79], v[120:121], -v[124:125]
	v_add_f64 v[80:81], v[76:77], v[78:79]
	v_fma_f64 v[76:77], s[12:13], v[134:135], v[20:21]
	v_fma_f64 v[78:79], s[2:3], v[138:139], v[22:23]
	v_fmac_f64_e32 v[20:21], s[2:3], v[134:135]
	v_fmac_f64_e32 v[22:23], s[12:13], v[138:139]
	;; [unrolled: 1-line block ×8, first 2 shown]
	ds_write_b128 v170, v[20:23] offset:5984
	v_fmac_f64_e32 v[24:25], s[14:15], v[134:135]
	v_fmac_f64_e32 v[26:27], s[0:1], v[138:139]
	v_add_f64 v[20:21], v[32:33], -v[44:45]
	v_add_f64 v[22:23], v[114:115], -v[112:113]
	v_fmac_f64_e32 v[76:77], s[0:1], v[132:133]
	v_fmac_f64_e32 v[78:79], s[14:15], v[136:137]
	;; [unrolled: 1-line block ×4, first 2 shown]
	v_add_f64 v[22:23], v[20:21], v[22:23]
	v_add_f64 v[20:21], v[44:45], v[112:113]
	v_fmac_f64_e32 v[76:77], s[6:7], v[82:83]
	v_fmac_f64_e32 v[78:79], s[6:7], v[80:81]
	ds_write_b128 v170, v[24:27] offset:7888
	s_waitcnt lgkmcnt(11)
	v_fma_f64 v[20:21], -0.5, v[20:21], v[16:17]
	v_add_f64 v[26:27], v[28:29], -v[46:47]
	ds_write_b128 v170, v[76:79] offset:4080
	v_add_f64 v[78:79], v[30:31], -v[36:37]
	v_fma_f64 v[76:77], s[2:3], v[26:27], v[20:21]
	v_fmac_f64_e32 v[20:21], s[12:13], v[26:27]
	v_fmac_f64_e32 v[76:77], s[0:1], v[78:79]
	;; [unrolled: 1-line block ×3, first 2 shown]
	v_add_f64 v[24:25], v[32:33], v[114:115]
	v_fmac_f64_e32 v[76:77], s[6:7], v[22:23]
	v_fmac_f64_e32 v[20:21], s[6:7], v[22:23]
	v_add_f64 v[22:23], v[16:17], v[32:33]
	v_fmac_f64_e32 v[16:17], -0.5, v[24:25]
	v_add_f64 v[24:25], v[44:45], -v[32:33]
	v_add_f64 v[80:81], v[112:113], -v[114:115]
	v_add_f64 v[80:81], v[24:25], v[80:81]
	v_fma_f64 v[24:25], s[12:13], v[78:79], v[16:17]
	v_fmac_f64_e32 v[16:17], s[2:3], v[78:79]
	v_fmac_f64_e32 v[24:25], s[0:1], v[26:27]
	;; [unrolled: 1-line block ×3, first 2 shown]
	v_add_f64 v[22:23], v[22:23], v[44:45]
	v_add_f64 v[26:27], v[18:19], v[28:29]
	;; [unrolled: 1-line block ×4, first 2 shown]
	v_fmac_f64_e32 v[24:25], s[6:7], v[80:81]
	v_fmac_f64_e32 v[16:17], s[6:7], v[80:81]
	v_add_f64 v[26:27], v[26:27], v[36:37]
	v_add_f64 v[80:81], v[22:23], v[114:115]
	;; [unrolled: 1-line block ×4, first 2 shown]
	v_fma_f64 v[22:23], -0.5, v[22:23], v[18:19]
	v_add_f64 v[32:33], v[32:33], -v[114:115]
	v_add_f64 v[26:27], v[28:29], -v[30:31]
	;; [unrolled: 1-line block ×4, first 2 shown]
	v_add_f64 v[26:27], v[26:27], v[78:79]
	v_fma_f64 v[78:79], s[12:13], v[32:33], v[22:23]
	v_fmac_f64_e32 v[22:23], s[2:3], v[32:33]
	v_fmac_f64_e32 v[78:79], s[14:15], v[44:45]
	;; [unrolled: 1-line block ×5, first 2 shown]
	v_add_f64 v[26:27], v[28:29], v[46:47]
	v_fmac_f64_e32 v[18:19], -0.5, v[26:27]
	v_add_f64 v[26:27], v[30:31], -v[28:29]
	v_add_f64 v[28:29], v[36:37], -v[46:47]
	v_add_f64 v[28:29], v[26:27], v[28:29]
	v_fma_f64 v[26:27], s[2:3], v[44:45], v[18:19]
	v_fmac_f64_e32 v[18:19], s[12:13], v[44:45]
	v_fmac_f64_e32 v[26:27], s[14:15], v[32:33]
	;; [unrolled: 1-line block ×5, first 2 shown]
	v_add_f64 v[28:29], v[34:35], -v[48:49]
	v_add_f64 v[30:31], v[62:63], -v[60:61]
	v_add_f64 v[30:31], v[28:29], v[30:31]
	v_add_f64 v[28:29], v[48:49], v[60:61]
	s_waitcnt lgkmcnt(11)
	v_fma_f64 v[28:29], -0.5, v[28:29], v[12:13]
	v_add_f64 v[44:45], v[38:39], -v[52:53]
	v_add_f64 v[46:47], v[40:41], -v[42:43]
	v_fma_f64 v[32:33], s[2:3], v[44:45], v[28:29]
	v_fmac_f64_e32 v[28:29], s[12:13], v[44:45]
	v_fmac_f64_e32 v[32:33], s[0:1], v[46:47]
	;; [unrolled: 1-line block ×3, first 2 shown]
	v_add_f64 v[36:37], v[34:35], v[62:63]
	v_fmac_f64_e32 v[32:33], s[6:7], v[30:31]
	v_fmac_f64_e32 v[28:29], s[6:7], v[30:31]
	v_add_f64 v[30:31], v[12:13], v[34:35]
	v_fmac_f64_e32 v[12:13], -0.5, v[36:37]
	v_add_f64 v[36:37], v[48:49], -v[34:35]
	v_add_f64 v[112:113], v[60:61], -v[62:63]
	v_add_f64 v[112:113], v[36:37], v[112:113]
	v_fma_f64 v[36:37], s[12:13], v[46:47], v[12:13]
	v_fmac_f64_e32 v[12:13], s[2:3], v[46:47]
	v_fmac_f64_e32 v[36:37], s[0:1], v[44:45]
	;; [unrolled: 1-line block ×3, first 2 shown]
	v_add_f64 v[30:31], v[30:31], v[48:49]
	v_add_f64 v[44:45], v[14:15], v[38:39]
	;; [unrolled: 1-line block ×7, first 2 shown]
	v_fma_f64 v[30:31], -0.5, v[30:31], v[14:15]
	v_add_f64 v[62:63], v[34:35], -v[62:63]
	v_add_f64 v[48:49], v[48:49], -v[60:61]
	;; [unrolled: 1-line block ×4, first 2 shown]
	v_add_f64 v[60:61], v[34:35], v[60:61]
	v_fma_f64 v[34:35], s[12:13], v[62:63], v[30:31]
	v_fmac_f64_e32 v[30:31], s[2:3], v[62:63]
	v_fmac_f64_e32 v[34:35], s[14:15], v[48:49]
	;; [unrolled: 1-line block ×5, first 2 shown]
	v_add_f64 v[60:61], v[38:39], v[52:53]
	v_fmac_f64_e32 v[14:15], -0.5, v[60:61]
	v_add_f64 v[38:39], v[40:41], -v[38:39]
	v_add_f64 v[40:41], v[42:43], -v[52:53]
	v_add_f64 v[40:41], v[38:39], v[40:41]
	v_fma_f64 v[38:39], s[2:3], v[48:49], v[14:15]
	v_fmac_f64_e32 v[14:15], s[12:13], v[48:49]
	v_fmac_f64_e32 v[38:39], s[14:15], v[62:63]
	;; [unrolled: 1-line block ×5, first 2 shown]
	v_add_f64 v[40:41], v[50:51], -v[64:65]
	v_add_f64 v[42:43], v[74:75], -v[72:73]
	v_add_f64 v[42:43], v[40:41], v[42:43]
	v_add_f64 v[40:41], v[64:65], v[72:73]
	s_waitcnt lgkmcnt(10)
	v_fma_f64 v[40:41], -0.5, v[40:41], v[8:9]
	v_add_f64 v[60:61], v[54:55], -v[68:69]
	v_add_f64 v[62:63], v[56:57], -v[58:59]
	v_fma_f64 v[48:49], s[2:3], v[60:61], v[40:41]
	v_fmac_f64_e32 v[40:41], s[12:13], v[60:61]
	v_add_f64 v[46:47], v[46:47], v[52:53]
	v_fmac_f64_e32 v[48:49], s[0:1], v[62:63]
	v_fmac_f64_e32 v[40:41], s[14:15], v[62:63]
	v_add_f64 v[52:53], v[50:51], v[74:75]
	v_fmac_f64_e32 v[36:37], s[6:7], v[112:113]
	v_fmac_f64_e32 v[12:13], s[6:7], v[112:113]
	;; [unrolled: 1-line block ×4, first 2 shown]
	v_add_f64 v[42:43], v[8:9], v[50:51]
	v_fmac_f64_e32 v[8:9], -0.5, v[52:53]
	v_add_f64 v[52:53], v[64:65], -v[50:51]
	v_add_f64 v[112:113], v[72:73], -v[74:75]
	v_add_f64 v[112:113], v[52:53], v[112:113]
	v_fma_f64 v[52:53], s[12:13], v[62:63], v[8:9]
	v_fmac_f64_e32 v[8:9], s[2:3], v[62:63]
	v_fmac_f64_e32 v[52:53], s[0:1], v[60:61]
	;; [unrolled: 1-line block ×3, first 2 shown]
	v_add_f64 v[42:43], v[42:43], v[64:65]
	v_add_f64 v[60:61], v[10:11], v[54:55]
	;; [unrolled: 1-line block ×7, first 2 shown]
	v_fma_f64 v[42:43], -0.5, v[42:43], v[10:11]
	v_add_f64 v[74:75], v[50:51], -v[74:75]
	v_add_f64 v[64:65], v[64:65], -v[72:73]
	v_add_f64 v[50:51], v[54:55], -v[56:57]
	v_add_f64 v[72:73], v[68:69], -v[58:59]
	v_add_f64 v[72:73], v[50:51], v[72:73]
	v_fma_f64 v[50:51], s[12:13], v[74:75], v[42:43]
	v_fmac_f64_e32 v[42:43], s[2:3], v[74:75]
	v_fmac_f64_e32 v[50:51], s[14:15], v[64:65]
	;; [unrolled: 1-line block ×5, first 2 shown]
	v_add_f64 v[72:73], v[54:55], v[68:69]
	v_fmac_f64_e32 v[10:11], -0.5, v[72:73]
	v_add_f64 v[54:55], v[56:57], -v[54:55]
	v_add_f64 v[56:57], v[58:59], -v[68:69]
	v_add_f64 v[56:57], v[54:55], v[56:57]
	v_fma_f64 v[54:55], s[2:3], v[64:65], v[10:11]
	v_fmac_f64_e32 v[10:11], s[12:13], v[64:65]
	v_fmac_f64_e32 v[54:55], s[14:15], v[74:75]
	v_fmac_f64_e32 v[10:11], s[0:1], v[74:75]
	v_fmac_f64_e32 v[54:55], s[6:7], v[56:57]
	v_fmac_f64_e32 v[10:11], s[6:7], v[56:57]
	v_add_f64 v[56:57], v[66:67], -v[92:93]
	v_add_f64 v[58:59], v[110:111], -v[108:109]
	v_add_f64 v[58:59], v[56:57], v[58:59]
	v_add_f64 v[56:57], v[92:93], v[108:109]
	s_waitcnt lgkmcnt(9)
	v_fma_f64 v[56:57], -0.5, v[56:57], v[4:5]
	v_add_f64 v[72:73], v[70:71], -v[94:95]
	v_add_f64 v[74:75], v[84:85], -v[88:89]
	v_fma_f64 v[64:65], s[2:3], v[72:73], v[56:57]
	v_fmac_f64_e32 v[56:57], s[12:13], v[72:73]
	v_add_f64 v[62:63], v[62:63], v[68:69]
	v_fmac_f64_e32 v[64:65], s[0:1], v[74:75]
	v_fmac_f64_e32 v[56:57], s[14:15], v[74:75]
	v_add_f64 v[68:69], v[66:67], v[110:111]
	v_fmac_f64_e32 v[52:53], s[6:7], v[112:113]
	v_fmac_f64_e32 v[8:9], s[6:7], v[112:113]
	;; [unrolled: 1-line block ×4, first 2 shown]
	v_add_f64 v[58:59], v[4:5], v[66:67]
	v_fmac_f64_e32 v[4:5], -0.5, v[68:69]
	v_add_f64 v[68:69], v[92:93], -v[66:67]
	v_add_f64 v[112:113], v[108:109], -v[110:111]
	v_add_f64 v[112:113], v[68:69], v[112:113]
	v_fma_f64 v[68:69], s[12:13], v[74:75], v[4:5]
	v_fmac_f64_e32 v[4:5], s[2:3], v[74:75]
	v_fmac_f64_e32 v[68:69], s[0:1], v[72:73]
	;; [unrolled: 1-line block ×3, first 2 shown]
	v_add_f64 v[58:59], v[58:59], v[92:93]
	v_add_f64 v[72:73], v[6:7], v[70:71]
	;; [unrolled: 1-line block ×7, first 2 shown]
	v_fma_f64 v[58:59], -0.5, v[58:59], v[6:7]
	v_add_f64 v[110:111], v[66:67], -v[110:111]
	v_add_f64 v[92:93], v[92:93], -v[108:109]
	;; [unrolled: 1-line block ×4, first 2 shown]
	v_add_f64 v[108:109], v[66:67], v[108:109]
	v_fma_f64 v[66:67], s[12:13], v[110:111], v[58:59]
	v_fmac_f64_e32 v[58:59], s[2:3], v[110:111]
	v_fmac_f64_e32 v[66:67], s[14:15], v[92:93]
	;; [unrolled: 1-line block ×5, first 2 shown]
	v_add_f64 v[108:109], v[70:71], v[94:95]
	v_fmac_f64_e32 v[6:7], -0.5, v[108:109]
	v_add_f64 v[70:71], v[84:85], -v[70:71]
	v_add_f64 v[84:85], v[88:89], -v[94:95]
	ds_write_b128 v210, v[80:83] offset:544
	v_add_f64 v[80:81], v[86:87], -v[100:101]
	v_add_f64 v[82:83], v[106:107], -v[104:105]
	v_add_f64 v[84:85], v[70:71], v[84:85]
	v_fma_f64 v[70:71], s[2:3], v[92:93], v[6:7]
	v_fmac_f64_e32 v[6:7], s[12:13], v[92:93]
	v_add_f64 v[82:83], v[80:81], v[82:83]
	v_add_f64 v[80:81], v[100:101], v[104:105]
	v_fmac_f64_e32 v[70:71], s[14:15], v[110:111]
	v_fmac_f64_e32 v[6:7], s[0:1], v[110:111]
	v_fma_f64 v[80:81], -0.5, v[80:81], v[0:1]
	v_add_f64 v[92:93], v[90:91], -v[102:103]
	v_add_f64 v[74:75], v[74:75], v[94:95]
	v_fmac_f64_e32 v[70:71], s[6:7], v[84:85]
	v_fmac_f64_e32 v[6:7], s[6:7], v[84:85]
	v_add_f64 v[94:95], v[96:97], -v[98:99]
	v_fma_f64 v[84:85], s[2:3], v[92:93], v[80:81]
	v_fmac_f64_e32 v[80:81], s[12:13], v[92:93]
	v_fmac_f64_e32 v[84:85], s[0:1], v[94:95]
	;; [unrolled: 1-line block ×3, first 2 shown]
	v_add_f64 v[88:89], v[86:87], v[106:107]
	v_fmac_f64_e32 v[84:85], s[6:7], v[82:83]
	v_fmac_f64_e32 v[80:81], s[6:7], v[82:83]
	v_add_f64 v[82:83], v[0:1], v[86:87]
	v_fmac_f64_e32 v[0:1], -0.5, v[88:89]
	v_add_f64 v[88:89], v[100:101], -v[86:87]
	v_add_f64 v[108:109], v[104:105], -v[106:107]
	v_add_f64 v[108:109], v[88:89], v[108:109]
	v_fma_f64 v[88:89], s[12:13], v[94:95], v[0:1]
	v_fmac_f64_e32 v[0:1], s[2:3], v[94:95]
	v_fmac_f64_e32 v[88:89], s[0:1], v[92:93]
	;; [unrolled: 1-line block ×3, first 2 shown]
	v_add_f64 v[82:83], v[82:83], v[100:101]
	v_add_f64 v[92:93], v[2:3], v[90:91]
	;; [unrolled: 1-line block ×7, first 2 shown]
	v_fma_f64 v[82:83], -0.5, v[82:83], v[2:3]
	v_add_f64 v[106:107], v[86:87], -v[106:107]
	v_add_f64 v[100:101], v[100:101], -v[104:105]
	;; [unrolled: 1-line block ×4, first 2 shown]
	v_add_f64 v[104:105], v[86:87], v[104:105]
	v_fma_f64 v[86:87], s[12:13], v[106:107], v[82:83]
	v_fmac_f64_e32 v[82:83], s[2:3], v[106:107]
	v_fmac_f64_e32 v[86:87], s[14:15], v[100:101]
	;; [unrolled: 1-line block ×5, first 2 shown]
	v_add_f64 v[104:105], v[90:91], v[102:103]
	v_fmac_f64_e32 v[2:3], -0.5, v[104:105]
	v_add_f64 v[90:91], v[96:97], -v[90:91]
	v_add_f64 v[96:97], v[98:99], -v[102:103]
	v_add_f64 v[98:99], v[90:91], v[96:97]
	v_fma_f64 v[90:91], s[2:3], v[100:101], v[2:3]
	v_fmac_f64_e32 v[2:3], s[12:13], v[100:101]
	v_accvgpr_read_b32 v100, a34
	v_fmac_f64_e32 v[90:91], s[14:15], v[106:107]
	v_fmac_f64_e32 v[2:3], s[0:1], v[106:107]
	v_mad_u64_u32 v[96:97], s[0:1], s10, v100, 0
	v_fmac_f64_e32 v[0:1], s[6:7], v[108:109]
	v_fmac_f64_e32 v[90:91], s[6:7], v[98:99]
	;; [unrolled: 1-line block ×3, first 2 shown]
	v_mov_b32_e32 v98, v97
	v_accvgpr_read_b32 v97, a20
	v_fmac_f64_e32 v[68:69], s[6:7], v[112:113]
	v_fmac_f64_e32 v[4:5], s[6:7], v[112:113]
	;; [unrolled: 1-line block ×3, first 2 shown]
	v_add_f64 v[94:95], v[94:95], v[102:103]
	ds_write_b128 v97, v[76:79] offset:1904
	ds_write_b128 v97, v[24:27] offset:3808
	;; [unrolled: 1-line block ×24, first 2 shown]
	v_mad_u64_u32 v[0:1], s[0:1], s11, v100, v[98:99]
	s_waitcnt lgkmcnt(0)
	; wave barrier
	s_waitcnt lgkmcnt(0)
	ds_read_b128 v[4:7], v210
	v_mov_b32_e32 v97, v0
	ds_read_b128 v[0:3], v210 offset:272
	buffer_load_dword v10, off, s[60:63], 0 offset:552 ; 4-byte Folded Reload
	buffer_load_dword v11, off, s[60:63], 0 offset:556 ; 4-byte Folded Reload
	;; [unrolled: 1-line block ×3, first 2 shown]
	s_mov_b32 s0, 0x1b89401c
	s_mov_b32 s1, 0x3f5b8940
	v_mov_b32_e32 v40, 0x550
	v_mov_b32_e32 v41, 0xffffe130
	s_waitcnt vmcnt(0)
	v_accvgpr_read_b32 v13, a221            ;  Reload Reuse
	s_waitcnt lgkmcnt(1)
	v_mul_f64 v[8:9], v[12:13], v[6:7]
	v_fmac_f64_e32 v[8:9], v[10:11], v[4:5]
	v_mul_f64 v[4:5], v[12:13], v[4:5]
	v_fma_f64 v[4:5], v[10:11], v[6:7], -v[4:5]
	v_mul_f64 v[10:11], v[4:5], s[0:1]
	v_mad_u64_u32 v[4:5], s[2:3], s8, v218, 0
	v_mov_b32_e32 v6, v5
	v_mad_u64_u32 v[6:7], s[2:3], s9, v218, v[6:7]
	v_mov_b32_e32 v5, v6
	v_lshlrev_b64 v[6:7], 4, v[96:97]
	v_mov_b32_e32 v12, s5
	v_add_co_u32_e32 v16, vcc, s4, v6
	v_addc_co_u32_e32 v17, vcc, v12, v7, vcc
	v_lshlrev_b64 v[12:13], 4, v[4:5]
	v_add_co_u32_e32 v12, vcc, v16, v12
	v_mul_f64 v[8:9], v[8:9], s[0:1]
	v_addc_co_u32_e32 v13, vcc, v17, v13, vcc
	global_store_dwordx4 v[12:13], v[8:11], off
	ds_read_b128 v[4:7], v210 offset:1360
	ds_read_b128 v[8:11], v210 offset:1088
	buffer_load_dword v20, off, s[60:63], 0 offset:20 ; 4-byte Folded Reload
	buffer_load_dword v21, off, s[60:63], 0 offset:24 ; 4-byte Folded Reload
	;; [unrolled: 1-line block ×4, first 2 shown]
	v_mad_u64_u32 v[26:27], s[2:3], s8, v40, v[12:13]
	s_mul_i32 s2, s9, 0x550
	v_add_u32_e32 v27, s2, v27
	s_mul_i32 s3, s9, 0xffffe130
	s_sub_i32 s3, s3, s8
	s_waitcnt vmcnt(0) lgkmcnt(1)
	v_mul_f64 v[14:15], v[22:23], v[6:7]
	v_fmac_f64_e32 v[14:15], v[20:21], v[4:5]
	v_mul_f64 v[4:5], v[22:23], v[4:5]
	v_fma_f64 v[4:5], v[20:21], v[6:7], -v[4:5]
	v_mul_f64 v[18:19], v[14:15], s[0:1]
	v_mul_f64 v[20:21], v[4:5], s[0:1]
	global_store_dwordx4 v[26:27], v[18:21], off
	ds_read_b128 v[4:7], v210 offset:2720
	ds_read_b128 v[18:21], v210 offset:2992
	buffer_load_dword v22, off, s[60:63], 0 offset:344 ; 4-byte Folded Reload
	buffer_load_dword v23, off, s[60:63], 0 offset:348 ; 4-byte Folded Reload
	;; [unrolled: 1-line block ×4, first 2 shown]
	v_mad_u64_u32 v[26:27], s[4:5], s8, v40, v[26:27]
	v_add_u32_e32 v27, s2, v27
	s_waitcnt vmcnt(0) lgkmcnt(1)
	v_mul_f64 v[12:13], v[24:25], v[6:7]
	v_fmac_f64_e32 v[12:13], v[22:23], v[4:5]
	v_mul_f64 v[4:5], v[24:25], v[4:5]
	v_fma_f64 v[4:5], v[22:23], v[6:7], -v[4:5]
	v_mul_f64 v[12:13], v[12:13], s[0:1]
	v_mul_f64 v[14:15], v[4:5], s[0:1]
	global_store_dwordx4 v[26:27], v[12:15], off
	ds_read_b128 v[22:25], v210 offset:4080
	ds_read_b128 v[4:7], v210 offset:3808
	buffer_load_dword v28, off, s[60:63], 0 offset:408 ; 4-byte Folded Reload
	buffer_load_dword v29, off, s[60:63], 0 offset:412 ; 4-byte Folded Reload
	;; [unrolled: 1-line block ×4, first 2 shown]
	s_waitcnt vmcnt(0) lgkmcnt(1)
	v_mul_f64 v[12:13], v[30:31], v[24:25]
	v_mul_f64 v[14:15], v[30:31], v[22:23]
	v_fmac_f64_e32 v[12:13], v[28:29], v[22:23]
	v_fma_f64 v[14:15], v[28:29], v[24:25], -v[14:15]
	v_mad_u64_u32 v[30:31], s[4:5], s8, v40, v[26:27]
	v_mul_f64 v[12:13], v[12:13], s[0:1]
	v_mul_f64 v[14:15], v[14:15], s[0:1]
	v_add_u32_e32 v31, s2, v31
	global_store_dwordx4 v[30:31], v[12:15], off
	ds_read_b128 v[22:25], v210 offset:5440
	ds_read_b128 v[26:29], v210 offset:5712
	buffer_load_dword v32, off, s[60:63], 0 offset:376 ; 4-byte Folded Reload
	buffer_load_dword v33, off, s[60:63], 0 offset:380 ; 4-byte Folded Reload
	;; [unrolled: 1-line block ×4, first 2 shown]
	s_waitcnt vmcnt(0) lgkmcnt(1)
	v_mul_f64 v[12:13], v[34:35], v[24:25]
	v_mul_f64 v[14:15], v[34:35], v[22:23]
	v_fmac_f64_e32 v[12:13], v[32:33], v[22:23]
	v_fma_f64 v[14:15], v[32:33], v[24:25], -v[14:15]
	v_mad_u64_u32 v[34:35], s[4:5], s8, v40, v[30:31]
	v_mul_f64 v[12:13], v[12:13], s[0:1]
	v_mul_f64 v[14:15], v[14:15], s[0:1]
	v_add_u32_e32 v35, s2, v35
	global_store_dwordx4 v[34:35], v[12:15], off
	ds_read_b128 v[22:25], v210 offset:6800
	ds_read_b128 v[12:15], v210 offset:6528
	buffer_load_dword v36, off, s[60:63], 0 offset:392 ; 4-byte Folded Reload
	buffer_load_dword v37, off, s[60:63], 0 offset:396 ; 4-byte Folded Reload
	;; [unrolled: 1-line block ×4, first 2 shown]
	s_waitcnt vmcnt(0) lgkmcnt(1)
	v_mul_f64 v[30:31], v[38:39], v[24:25]
	v_fmac_f64_e32 v[30:31], v[36:37], v[22:23]
	v_mul_f64 v[22:23], v[38:39], v[22:23]
	v_fma_f64 v[22:23], v[36:37], v[24:25], -v[22:23]
	v_mad_u64_u32 v[38:39], s[4:5], s8, v40, v[34:35]
	v_mul_f64 v[30:31], v[30:31], s[0:1]
	v_mul_f64 v[32:33], v[22:23], s[0:1]
	v_add_u32_e32 v39, s2, v39
	global_store_dwordx4 v[38:39], v[30:33], off
	ds_read_b128 v[22:25], v210 offset:8160
	ds_read_b128 v[30:33], v210 offset:8432
	buffer_load_dword v42, off, s[60:63], 0 offset:360 ; 4-byte Folded Reload
	buffer_load_dword v43, off, s[60:63], 0 offset:364 ; 4-byte Folded Reload
	;; [unrolled: 1-line block ×4, first 2 shown]
	v_mad_u64_u32 v[38:39], s[4:5], s8, v40, v[38:39]
	v_add_u32_e32 v39, s2, v39
	s_waitcnt vmcnt(0) lgkmcnt(1)
	v_mul_f64 v[34:35], v[44:45], v[24:25]
	v_fmac_f64_e32 v[34:35], v[42:43], v[22:23]
	v_mul_f64 v[22:23], v[44:45], v[22:23]
	v_fma_f64 v[22:23], v[42:43], v[24:25], -v[22:23]
	v_mul_f64 v[34:35], v[34:35], s[0:1]
	v_mul_f64 v[36:37], v[22:23], s[0:1]
	global_store_dwordx4 v[38:39], v[34:37], off
	buffer_load_dword v34, off, s[60:63], 0 offset:324 ; 4-byte Folded Reload
	s_nop 0
	buffer_load_dword v35, off, s[60:63], 0 offset:328 ; 4-byte Folded Reload
	buffer_load_dword v36, off, s[60:63], 0 offset:332 ; 4-byte Folded Reload
	;; [unrolled: 1-line block ×3, first 2 shown]
	v_mad_u64_u32 v[38:39], s[4:5], s8, v41, v[38:39]
	v_add_u32_e32 v39, s3, v39
	s_waitcnt vmcnt(0)
	v_mul_f64 v[22:23], v[36:37], v[2:3]
	v_fmac_f64_e32 v[22:23], v[34:35], v[0:1]
	v_mul_f64 v[0:1], v[36:37], v[0:1]
	v_fma_f64 v[0:1], v[34:35], v[2:3], -v[0:1]
	v_mul_f64 v[22:23], v[22:23], s[0:1]
	v_mul_f64 v[24:25], v[0:1], s[0:1]
	global_store_dwordx4 v[38:39], v[22:25], off
	ds_read_b128 v[0:3], v210 offset:1632
	ds_read_b128 v[22:25], v210 offset:1904
	buffer_load_dword v42, off, s[60:63], 0 offset:276 ; 4-byte Folded Reload
	buffer_load_dword v43, off, s[60:63], 0 offset:280 ; 4-byte Folded Reload
	buffer_load_dword v44, off, s[60:63], 0 offset:284 ; 4-byte Folded Reload
	buffer_load_dword v45, off, s[60:63], 0 offset:288 ; 4-byte Folded Reload
	v_mad_u64_u32 v[38:39], s[4:5], s8, v40, v[38:39]
	v_add_u32_e32 v39, s2, v39
	s_waitcnt vmcnt(0) lgkmcnt(1)
	v_mul_f64 v[34:35], v[44:45], v[2:3]
	v_fmac_f64_e32 v[34:35], v[42:43], v[0:1]
	v_mul_f64 v[0:1], v[44:45], v[0:1]
	v_fma_f64 v[0:1], v[42:43], v[2:3], -v[0:1]
	v_mul_f64 v[34:35], v[34:35], s[0:1]
	v_mul_f64 v[36:37], v[0:1], s[0:1]
	global_store_dwordx4 v[38:39], v[34:37], off
	buffer_load_dword v34, off, s[60:63], 0 offset:244 ; 4-byte Folded Reload
	s_nop 0
	buffer_load_dword v35, off, s[60:63], 0 offset:248 ; 4-byte Folded Reload
	buffer_load_dword v36, off, s[60:63], 0 offset:252 ; 4-byte Folded Reload
	buffer_load_dword v37, off, s[60:63], 0 offset:256 ; 4-byte Folded Reload
	v_mad_u64_u32 v[38:39], s[4:5], s8, v40, v[38:39]
	v_add_u32_e32 v39, s2, v39
	s_waitcnt vmcnt(0)
	v_mul_f64 v[0:1], v[36:37], v[20:21]
	v_mul_f64 v[2:3], v[36:37], v[18:19]
	v_fmac_f64_e32 v[0:1], v[34:35], v[18:19]
	v_fma_f64 v[2:3], v[34:35], v[20:21], -v[2:3]
	v_mul_f64 v[0:1], v[0:1], s[0:1]
	v_mul_f64 v[2:3], v[2:3], s[0:1]
	global_store_dwordx4 v[38:39], v[0:3], off
	ds_read_b128 v[18:21], v210 offset:4352
	ds_read_b128 v[0:3], v210 offset:4624
	buffer_load_dword v42, off, s[60:63], 0 offset:196 ; 4-byte Folded Reload
	buffer_load_dword v43, off, s[60:63], 0 offset:200 ; 4-byte Folded Reload
	buffer_load_dword v44, off, s[60:63], 0 offset:204 ; 4-byte Folded Reload
	buffer_load_dword v45, off, s[60:63], 0 offset:208 ; 4-byte Folded Reload
	v_mad_u64_u32 v[38:39], s[4:5], s8, v40, v[38:39]
	v_add_u32_e32 v39, s2, v39
	s_waitcnt vmcnt(0) lgkmcnt(1)
	v_mul_f64 v[34:35], v[44:45], v[20:21]
	v_fmac_f64_e32 v[34:35], v[42:43], v[18:19]
	v_mul_f64 v[18:19], v[44:45], v[18:19]
	v_fma_f64 v[18:19], v[42:43], v[20:21], -v[18:19]
	v_mul_f64 v[34:35], v[34:35], s[0:1]
	v_mul_f64 v[36:37], v[18:19], s[0:1]
	global_store_dwordx4 v[38:39], v[34:37], off
	buffer_load_dword v34, off, s[60:63], 0 offset:164 ; 4-byte Folded Reload
	s_nop 0
	buffer_load_dword v35, off, s[60:63], 0 offset:168 ; 4-byte Folded Reload
	buffer_load_dword v36, off, s[60:63], 0 offset:172 ; 4-byte Folded Reload
	buffer_load_dword v37, off, s[60:63], 0 offset:176 ; 4-byte Folded Reload
	v_mad_u64_u32 v[38:39], s[4:5], s8, v40, v[38:39]
	v_add_u32_e32 v39, s2, v39
	s_waitcnt vmcnt(0)
	v_mul_f64 v[18:19], v[36:37], v[28:29]
	v_mul_f64 v[20:21], v[36:37], v[26:27]
	v_fmac_f64_e32 v[18:19], v[34:35], v[26:27]
	;; [unrolled: 31-line block ×3, first 2 shown]
	v_fma_f64 v[28:29], v[34:35], v[32:33], -v[28:29]
	v_mul_f64 v[26:27], v[26:27], s[0:1]
	v_mul_f64 v[28:29], v[28:29], s[0:1]
	global_store_dwordx4 v[38:39], v[26:29], off
	ds_read_b128 v[30:33], v210 offset:544
	ds_read_b128 v[26:29], v210 offset:816
	buffer_load_dword v42, off, s[60:63], 0 offset:84 ; 4-byte Folded Reload
	buffer_load_dword v43, off, s[60:63], 0 offset:88 ; 4-byte Folded Reload
	;; [unrolled: 1-line block ×4, first 2 shown]
	v_mad_u64_u32 v[38:39], s[4:5], s8, v41, v[38:39]
	v_add_u32_e32 v39, s3, v39
	s_waitcnt vmcnt(0) lgkmcnt(1)
	v_mul_f64 v[34:35], v[44:45], v[32:33]
	v_fmac_f64_e32 v[34:35], v[42:43], v[30:31]
	v_mul_f64 v[30:31], v[44:45], v[30:31]
	v_fma_f64 v[30:31], v[42:43], v[32:33], -v[30:31]
	v_mul_f64 v[34:35], v[34:35], s[0:1]
	v_mul_f64 v[36:37], v[30:31], s[0:1]
	global_store_dwordx4 v[38:39], v[34:37], off
	buffer_load_dword v32, off, s[60:63], 0 offset:68 ; 4-byte Folded Reload
	s_nop 0
	buffer_load_dword v33, off, s[60:63], 0 offset:72 ; 4-byte Folded Reload
	buffer_load_dword v34, off, s[60:63], 0 offset:76 ; 4-byte Folded Reload
	;; [unrolled: 1-line block ×3, first 2 shown]
	v_mad_u64_u32 v[38:39], s[4:5], s8, v40, v[38:39]
	v_add_u32_e32 v39, s2, v39
	s_waitcnt vmcnt(0)
	v_mul_f64 v[30:31], v[34:35], v[24:25]
	v_fmac_f64_e32 v[30:31], v[32:33], v[22:23]
	v_mul_f64 v[22:23], v[34:35], v[22:23]
	v_fma_f64 v[22:23], v[32:33], v[24:25], -v[22:23]
	v_mul_f64 v[30:31], v[30:31], s[0:1]
	v_mul_f64 v[32:33], v[22:23], s[0:1]
	global_store_dwordx4 v[38:39], v[30:33], off
	ds_read_b128 v[22:25], v210 offset:3264
	ds_read_b128 v[30:33], v210 offset:3536
	buffer_load_dword v42, off, s[60:63], 0 offset:36 ; 4-byte Folded Reload
	buffer_load_dword v43, off, s[60:63], 0 offset:40 ; 4-byte Folded Reload
	;; [unrolled: 1-line block ×4, first 2 shown]
	v_mad_u64_u32 v[38:39], s[4:5], s8, v40, v[38:39]
	v_add_u32_e32 v39, s2, v39
	s_waitcnt vmcnt(0) lgkmcnt(1)
	v_mul_f64 v[34:35], v[44:45], v[24:25]
	v_fmac_f64_e32 v[34:35], v[42:43], v[22:23]
	v_mul_f64 v[22:23], v[44:45], v[22:23]
	v_fma_f64 v[22:23], v[42:43], v[24:25], -v[22:23]
	v_mul_f64 v[34:35], v[34:35], s[0:1]
	v_mul_f64 v[36:37], v[22:23], s[0:1]
	global_store_dwordx4 v[38:39], v[34:37], off
	buffer_load_dword v34, off, s[60:63], 0 offset:308 ; 4-byte Folded Reload
	s_nop 0
	buffer_load_dword v35, off, s[60:63], 0 offset:312 ; 4-byte Folded Reload
	buffer_load_dword v36, off, s[60:63], 0 offset:316 ; 4-byte Folded Reload
	;; [unrolled: 1-line block ×3, first 2 shown]
	v_mad_u64_u32 v[38:39], s[4:5], s8, v40, v[38:39]
	v_add_u32_e32 v39, s2, v39
	s_waitcnt vmcnt(0)
	v_mul_f64 v[22:23], v[36:37], v[2:3]
	v_fmac_f64_e32 v[22:23], v[34:35], v[0:1]
	v_mul_f64 v[0:1], v[36:37], v[0:1]
	v_fma_f64 v[0:1], v[34:35], v[2:3], -v[0:1]
	v_mul_f64 v[22:23], v[22:23], s[0:1]
	v_mul_f64 v[24:25], v[0:1], s[0:1]
	global_store_dwordx4 v[38:39], v[22:25], off
	ds_read_b128 v[0:3], v210 offset:5984
	ds_read_b128 v[22:25], v210 offset:6256
	buffer_load_dword v42, off, s[60:63], 0 offset:536 ; 4-byte Folded Reload
	buffer_load_dword v43, off, s[60:63], 0 offset:540 ; 4-byte Folded Reload
	;; [unrolled: 1-line block ×4, first 2 shown]
	v_mad_u64_u32 v[38:39], s[4:5], s8, v40, v[38:39]
	v_add_u32_e32 v39, s2, v39
	s_waitcnt vmcnt(0) lgkmcnt(1)
	v_mul_f64 v[34:35], v[44:45], v[2:3]
	v_fmac_f64_e32 v[34:35], v[42:43], v[0:1]
	v_mul_f64 v[0:1], v[44:45], v[0:1]
	v_fma_f64 v[0:1], v[42:43], v[2:3], -v[0:1]
	v_mul_f64 v[34:35], v[34:35], s[0:1]
	v_mul_f64 v[36:37], v[0:1], s[0:1]
	global_store_dwordx4 v[38:39], v[34:37], off
	buffer_load_dword v34, off, s[60:63], 0 offset:520 ; 4-byte Folded Reload
	s_nop 0
	buffer_load_dword v35, off, s[60:63], 0 offset:524 ; 4-byte Folded Reload
	buffer_load_dword v36, off, s[60:63], 0 offset:528 ; 4-byte Folded Reload
	;; [unrolled: 1-line block ×3, first 2 shown]
	v_mad_u64_u32 v[38:39], s[4:5], s8, v40, v[38:39]
	v_add_u32_e32 v39, s2, v39
	s_waitcnt vmcnt(0)
	v_mul_f64 v[0:1], v[36:37], v[20:21]
	v_mul_f64 v[2:3], v[36:37], v[18:19]
	v_fmac_f64_e32 v[0:1], v[34:35], v[18:19]
	v_fma_f64 v[2:3], v[34:35], v[20:21], -v[2:3]
	v_mul_f64 v[0:1], v[0:1], s[0:1]
	v_mul_f64 v[2:3], v[2:3], s[0:1]
	global_store_dwordx4 v[38:39], v[0:3], off
	ds_read_b128 v[18:21], v210 offset:8704
	ds_read_b128 v[0:3], v210 offset:8976
	buffer_load_dword v42, off, s[60:63], 0 offset:504 ; 4-byte Folded Reload
	buffer_load_dword v43, off, s[60:63], 0 offset:508 ; 4-byte Folded Reload
	;; [unrolled: 1-line block ×4, first 2 shown]
	s_waitcnt vmcnt(0) lgkmcnt(1)
	v_mul_f64 v[34:35], v[44:45], v[20:21]
	v_fmac_f64_e32 v[34:35], v[42:43], v[18:19]
	v_mul_f64 v[18:19], v[44:45], v[18:19]
	v_fma_f64 v[18:19], v[42:43], v[20:21], -v[18:19]
	buffer_load_dword v21, off, s[60:63], 0 ; 4-byte Folded Reload
	v_mul_f64 v[36:37], v[18:19], s[0:1]
	v_mul_f64 v[34:35], v[34:35], s[0:1]
	s_waitcnt vmcnt(0)
	v_mad_u64_u32 v[18:19], s[4:5], s8, v21, 0
	v_mov_b32_e32 v20, v19
	v_mad_u64_u32 v[20:21], s[4:5], s9, v21, v[20:21]
	v_mov_b32_e32 v19, v20
	v_lshlrev_b64 v[18:19], 4, v[18:19]
	v_add_co_u32_e32 v16, vcc, v16, v18
	v_addc_co_u32_e32 v17, vcc, v17, v19, vcc
	global_store_dwordx4 v[16:17], v[34:37], off
	buffer_load_dword v34, off, s[60:63], 0 offset:488 ; 4-byte Folded Reload
	s_nop 0
	buffer_load_dword v35, off, s[60:63], 0 offset:492 ; 4-byte Folded Reload
	buffer_load_dword v36, off, s[60:63], 0 offset:496 ; 4-byte Folded Reload
	buffer_load_dword v37, off, s[60:63], 0 offset:500 ; 4-byte Folded Reload
	v_mov_b32_e32 v20, 0xffffe680
	v_mad_u64_u32 v[20:21], s[4:5], s8, v20, v[38:39]
	s_mul_i32 s4, s9, 0xffffe680
	s_sub_i32 s4, s4, s8
	v_add_u32_e32 v21, s4, v21
	s_waitcnt vmcnt(0)
	v_mul_f64 v[16:17], v[36:37], v[28:29]
	v_mul_f64 v[18:19], v[36:37], v[26:27]
	v_fmac_f64_e32 v[16:17], v[34:35], v[26:27]
	v_fma_f64 v[18:19], v[34:35], v[28:29], -v[18:19]
	v_mul_f64 v[16:17], v[16:17], s[0:1]
	v_mul_f64 v[18:19], v[18:19], s[0:1]
	global_store_dwordx4 v[20:21], v[16:19], off
	ds_read_b128 v[26:29], v210 offset:2176
	ds_read_b128 v[16:19], v210 offset:2448
	buffer_load_dword v36, off, s[60:63], 0 offset:472 ; 4-byte Folded Reload
	buffer_load_dword v37, off, s[60:63], 0 offset:476 ; 4-byte Folded Reload
	;; [unrolled: 1-line block ×4, first 2 shown]
	v_mad_u64_u32 v[20:21], s[4:5], s8, v40, v[20:21]
	v_add_u32_e32 v21, s2, v21
	s_waitcnt vmcnt(0) lgkmcnt(1)
	v_mul_f64 v[34:35], v[38:39], v[28:29]
	v_fmac_f64_e32 v[34:35], v[36:37], v[26:27]
	v_mul_f64 v[26:27], v[38:39], v[26:27]
	v_fma_f64 v[26:27], v[36:37], v[28:29], -v[26:27]
	v_mul_f64 v[34:35], v[34:35], s[0:1]
	v_mul_f64 v[36:37], v[26:27], s[0:1]
	global_store_dwordx4 v[20:21], v[34:37], off
	buffer_load_dword v34, off, s[60:63], 0 offset:456 ; 4-byte Folded Reload
	s_nop 0
	buffer_load_dword v35, off, s[60:63], 0 offset:460 ; 4-byte Folded Reload
	buffer_load_dword v36, off, s[60:63], 0 offset:464 ; 4-byte Folded Reload
	;; [unrolled: 1-line block ×3, first 2 shown]
	v_mad_u64_u32 v[20:21], s[4:5], s8, v40, v[20:21]
	v_add_u32_e32 v21, s2, v21
	s_waitcnt vmcnt(0)
	v_mul_f64 v[26:27], v[36:37], v[32:33]
	v_mul_f64 v[28:29], v[36:37], v[30:31]
	v_fmac_f64_e32 v[26:27], v[34:35], v[30:31]
	v_fma_f64 v[28:29], v[34:35], v[32:33], -v[28:29]
	v_mul_f64 v[26:27], v[26:27], s[0:1]
	v_mul_f64 v[28:29], v[28:29], s[0:1]
	global_store_dwordx4 v[20:21], v[26:29], off
	ds_read_b128 v[30:33], v210 offset:4896
	ds_read_b128 v[26:29], v210 offset:5168
	buffer_load_dword v36, off, s[60:63], 0 offset:440 ; 4-byte Folded Reload
	buffer_load_dword v37, off, s[60:63], 0 offset:444 ; 4-byte Folded Reload
	;; [unrolled: 1-line block ×4, first 2 shown]
	s_waitcnt vmcnt(0) lgkmcnt(1)
	v_mul_f64 v[34:35], v[38:39], v[32:33]
	v_fmac_f64_e32 v[34:35], v[36:37], v[30:31]
	v_mul_f64 v[30:31], v[38:39], v[30:31]
	v_fma_f64 v[30:31], v[36:37], v[32:33], -v[30:31]
	v_mad_u64_u32 v[38:39], s[4:5], s8, v40, v[20:21]
	v_mul_f64 v[34:35], v[34:35], s[0:1]
	v_mul_f64 v[36:37], v[30:31], s[0:1]
	v_add_u32_e32 v39, s2, v39
	global_store_dwordx4 v[38:39], v[34:37], off
	buffer_load_dword v30, off, s[60:63], 0 offset:424 ; 4-byte Folded Reload
	buffer_load_dword v31, off, s[60:63], 0 offset:428 ; 4-byte Folded Reload
	;; [unrolled: 1-line block ×4, first 2 shown]
	s_waitcnt vmcnt(0)
	v_mul_f64 v[20:21], v[32:33], v[24:25]
	v_fmac_f64_e32 v[20:21], v[30:31], v[22:23]
	v_mul_f64 v[22:23], v[32:33], v[22:23]
	v_fma_f64 v[22:23], v[30:31], v[24:25], -v[22:23]
	v_mad_u64_u32 v[24:25], s[4:5], s8, v40, v[38:39]
	v_mul_f64 v[20:21], v[20:21], s[0:1]
	v_mul_f64 v[22:23], v[22:23], s[0:1]
	v_add_u32_e32 v25, s2, v25
	global_store_dwordx4 v[24:25], v[20:23], off
	ds_read_b128 v[30:33], v210 offset:7616
	ds_read_b128 v[20:23], v210 offset:7888
	buffer_load_dword v36, off, s[60:63], 0 offset:292 ; 4-byte Folded Reload
	buffer_load_dword v37, off, s[60:63], 0 offset:296 ; 4-byte Folded Reload
	buffer_load_dword v38, off, s[60:63], 0 offset:300 ; 4-byte Folded Reload
	buffer_load_dword v39, off, s[60:63], 0 offset:304 ; 4-byte Folded Reload
	v_mad_u64_u32 v[24:25], s[4:5], s8, v40, v[24:25]
	v_add_u32_e32 v25, s2, v25
	s_waitcnt vmcnt(0) lgkmcnt(1)
	v_mul_f64 v[34:35], v[38:39], v[32:33]
	v_fmac_f64_e32 v[34:35], v[36:37], v[30:31]
	v_mul_f64 v[30:31], v[38:39], v[30:31]
	v_fma_f64 v[30:31], v[36:37], v[32:33], -v[30:31]
	v_mul_f64 v[34:35], v[34:35], s[0:1]
	v_mul_f64 v[36:37], v[30:31], s[0:1]
	global_store_dwordx4 v[24:25], v[34:37], off
	buffer_load_dword v32, off, s[60:63], 0 offset:260 ; 4-byte Folded Reload
	s_nop 0
	buffer_load_dword v33, off, s[60:63], 0 offset:264 ; 4-byte Folded Reload
	buffer_load_dword v34, off, s[60:63], 0 offset:268 ; 4-byte Folded Reload
	;; [unrolled: 1-line block ×3, first 2 shown]
	v_mad_u64_u32 v[24:25], s[4:5], s8, v40, v[24:25]
	v_add_u32_e32 v25, s2, v25
	s_waitcnt vmcnt(0)
	v_mul_f64 v[30:31], v[34:35], v[2:3]
	v_fmac_f64_e32 v[30:31], v[32:33], v[0:1]
	v_mul_f64 v[0:1], v[34:35], v[0:1]
	v_fma_f64 v[0:1], v[32:33], v[2:3], -v[0:1]
	v_mul_f64 v[30:31], v[30:31], s[0:1]
	v_mul_f64 v[32:33], v[0:1], s[0:1]
	global_store_dwordx4 v[24:25], v[30:33], off
	buffer_load_dword v30, off, s[60:63], 0 offset:228 ; 4-byte Folded Reload
	s_nop 0
	buffer_load_dword v31, off, s[60:63], 0 offset:232 ; 4-byte Folded Reload
	buffer_load_dword v32, off, s[60:63], 0 offset:236 ; 4-byte Folded Reload
	;; [unrolled: 1-line block ×3, first 2 shown]
	s_waitcnt vmcnt(0)
	v_mul_f64 v[0:1], v[32:33], v[10:11]
	v_mul_f64 v[2:3], v[32:33], v[8:9]
	v_fmac_f64_e32 v[0:1], v[30:31], v[8:9]
	v_fma_f64 v[2:3], v[30:31], v[10:11], -v[2:3]
	v_mad_u64_u32 v[8:9], s[4:5], s8, v41, v[24:25]
	v_mul_f64 v[0:1], v[0:1], s[0:1]
	v_mul_f64 v[2:3], v[2:3], s[0:1]
	v_add_u32_e32 v9, s3, v9
	global_store_dwordx4 v[8:9], v[0:3], off
	buffer_load_dword v30, off, s[60:63], 0 offset:212 ; 4-byte Folded Reload
	buffer_load_dword v31, off, s[60:63], 0 offset:216 ; 4-byte Folded Reload
	;; [unrolled: 1-line block ×4, first 2 shown]
	v_mad_u64_u32 v[8:9], s[4:5], s8, v40, v[8:9]
	v_add_u32_e32 v9, s2, v9
	s_waitcnt vmcnt(0)
	v_mul_f64 v[0:1], v[32:33], v[18:19]
	v_mul_f64 v[2:3], v[32:33], v[16:17]
	v_fmac_f64_e32 v[0:1], v[30:31], v[16:17]
	v_fma_f64 v[2:3], v[30:31], v[18:19], -v[2:3]
	v_mul_f64 v[0:1], v[0:1], s[0:1]
	v_mul_f64 v[2:3], v[2:3], s[0:1]
	global_store_dwordx4 v[8:9], v[0:3], off
	buffer_load_dword v16, off, s[60:63], 0 offset:180 ; 4-byte Folded Reload
	buffer_load_dword v17, off, s[60:63], 0 offset:184 ; 4-byte Folded Reload
	;; [unrolled: 1-line block ×4, first 2 shown]
	s_waitcnt vmcnt(0)
	v_mul_f64 v[0:1], v[18:19], v[6:7]
	v_mul_f64 v[2:3], v[18:19], v[4:5]
	v_fmac_f64_e32 v[0:1], v[16:17], v[4:5]
	v_fma_f64 v[2:3], v[16:17], v[6:7], -v[2:3]
	v_mad_u64_u32 v[4:5], s[4:5], s8, v40, v[8:9]
	v_mul_f64 v[0:1], v[0:1], s[0:1]
	v_mul_f64 v[2:3], v[2:3], s[0:1]
	v_add_u32_e32 v5, s2, v5
	global_store_dwordx4 v[4:5], v[0:3], off
	buffer_load_dword v6, off, s[60:63], 0 offset:148 ; 4-byte Folded Reload
	buffer_load_dword v7, off, s[60:63], 0 offset:152 ; 4-byte Folded Reload
	;; [unrolled: 1-line block ×4, first 2 shown]
	v_mad_u64_u32 v[4:5], s[4:5], s8, v40, v[4:5]
	v_add_u32_e32 v5, s2, v5
	s_waitcnt vmcnt(0)
	v_mul_f64 v[0:1], v[8:9], v[28:29]
	v_mul_f64 v[2:3], v[8:9], v[26:27]
	v_fmac_f64_e32 v[0:1], v[6:7], v[26:27]
	v_fma_f64 v[2:3], v[6:7], v[28:29], -v[2:3]
	v_mul_f64 v[0:1], v[0:1], s[0:1]
	v_mul_f64 v[2:3], v[2:3], s[0:1]
	global_store_dwordx4 v[4:5], v[0:3], off
	buffer_load_dword v6, off, s[60:63], 0 offset:116 ; 4-byte Folded Reload
	buffer_load_dword v7, off, s[60:63], 0 offset:120 ; 4-byte Folded Reload
	;; [unrolled: 1-line block ×4, first 2 shown]
	s_waitcnt vmcnt(0)
	v_mul_f64 v[0:1], v[8:9], v[14:15]
	v_mul_f64 v[2:3], v[8:9], v[12:13]
	v_fmac_f64_e32 v[0:1], v[6:7], v[12:13]
	v_fma_f64 v[2:3], v[6:7], v[14:15], -v[2:3]
	v_mad_u64_u32 v[8:9], s[4:5], s8, v40, v[4:5]
	v_mul_f64 v[0:1], v[0:1], s[0:1]
	v_mul_f64 v[2:3], v[2:3], s[0:1]
	v_add_u32_e32 v9, s2, v9
	global_store_dwordx4 v[8:9], v[0:3], off
	buffer_load_dword v4, off, s[60:63], 0 offset:52 ; 4-byte Folded Reload
	buffer_load_dword v5, off, s[60:63], 0 offset:56 ; 4-byte Folded Reload
	;; [unrolled: 1-line block ×4, first 2 shown]
	v_mad_u64_u32 v[8:9], s[4:5], s8, v40, v[8:9]
	v_add_u32_e32 v9, s2, v9
	s_waitcnt vmcnt(0) lgkmcnt(0)
	v_mul_f64 v[0:1], v[6:7], v[22:23]
	v_mul_f64 v[2:3], v[6:7], v[20:21]
	v_fmac_f64_e32 v[0:1], v[4:5], v[20:21]
	v_fma_f64 v[2:3], v[4:5], v[22:23], -v[2:3]
	v_mul_f64 v[0:1], v[0:1], s[0:1]
	v_mul_f64 v[2:3], v[2:3], s[0:1]
	global_store_dwordx4 v[8:9], v[0:3], off
	ds_read_b128 v[4:7], v210 offset:9248
	buffer_load_dword v10, off, s[60:63], 0 offset:4 ; 4-byte Folded Reload
	buffer_load_dword v11, off, s[60:63], 0 offset:8 ; 4-byte Folded Reload
	;; [unrolled: 1-line block ×4, first 2 shown]
	s_waitcnt vmcnt(0) lgkmcnt(0)
	v_mul_f64 v[0:1], v[12:13], v[6:7]
	v_mul_f64 v[2:3], v[12:13], v[4:5]
	v_fmac_f64_e32 v[0:1], v[10:11], v[4:5]
	v_fma_f64 v[2:3], v[10:11], v[6:7], -v[2:3]
	v_mul_f64 v[0:1], v[0:1], s[0:1]
	v_mul_f64 v[2:3], v[2:3], s[0:1]
	v_mad_u64_u32 v[4:5], s[0:1], s8, v40, v[8:9]
	v_add_u32_e32 v5, s2, v5
	global_store_dwordx4 v[4:5], v[0:3], off
.LBB0_10:
	s_endpgm
	.section	.rodata,"a",@progbits
	.p2align	6, 0x0
	.amdhsa_kernel bluestein_single_back_len595_dim1_dp_op_CI_CI
		.amdhsa_group_segment_fixed_size 28560
		.amdhsa_private_segment_fixed_size 896
		.amdhsa_kernarg_size 104
		.amdhsa_user_sgpr_count 6
		.amdhsa_user_sgpr_private_segment_buffer 1
		.amdhsa_user_sgpr_dispatch_ptr 0
		.amdhsa_user_sgpr_queue_ptr 0
		.amdhsa_user_sgpr_kernarg_segment_ptr 1
		.amdhsa_user_sgpr_dispatch_id 0
		.amdhsa_user_sgpr_flat_scratch_init 0
		.amdhsa_user_sgpr_kernarg_preload_length 0
		.amdhsa_user_sgpr_kernarg_preload_offset 0
		.amdhsa_user_sgpr_private_segment_size 0
		.amdhsa_uses_dynamic_stack 0
		.amdhsa_system_sgpr_private_segment_wavefront_offset 1
		.amdhsa_system_sgpr_workgroup_id_x 1
		.amdhsa_system_sgpr_workgroup_id_y 0
		.amdhsa_system_sgpr_workgroup_id_z 0
		.amdhsa_system_sgpr_workgroup_info 0
		.amdhsa_system_vgpr_workitem_id 0
		.amdhsa_next_free_vgpr 512
		.amdhsa_next_free_sgpr 64
		.amdhsa_accum_offset 256
		.amdhsa_reserve_vcc 1
		.amdhsa_reserve_flat_scratch 0
		.amdhsa_float_round_mode_32 0
		.amdhsa_float_round_mode_16_64 0
		.amdhsa_float_denorm_mode_32 3
		.amdhsa_float_denorm_mode_16_64 3
		.amdhsa_dx10_clamp 1
		.amdhsa_ieee_mode 1
		.amdhsa_fp16_overflow 0
		.amdhsa_tg_split 0
		.amdhsa_exception_fp_ieee_invalid_op 0
		.amdhsa_exception_fp_denorm_src 0
		.amdhsa_exception_fp_ieee_div_zero 0
		.amdhsa_exception_fp_ieee_overflow 0
		.amdhsa_exception_fp_ieee_underflow 0
		.amdhsa_exception_fp_ieee_inexact 0
		.amdhsa_exception_int_div_zero 0
	.end_amdhsa_kernel
	.text
.Lfunc_end0:
	.size	bluestein_single_back_len595_dim1_dp_op_CI_CI, .Lfunc_end0-bluestein_single_back_len595_dim1_dp_op_CI_CI
                                        ; -- End function
	.section	.AMDGPU.csdata,"",@progbits
; Kernel info:
; codeLenInByte = 71188
; NumSgprs: 68
; NumVgprs: 256
; NumAgprs: 256
; TotalNumVgprs: 512
; ScratchSize: 896
; MemoryBound: 0
; FloatMode: 240
; IeeeMode: 1
; LDSByteSize: 28560 bytes/workgroup (compile time only)
; SGPRBlocks: 8
; VGPRBlocks: 63
; NumSGPRsForWavesPerEU: 68
; NumVGPRsForWavesPerEU: 512
; AccumOffset: 256
; Occupancy: 1
; WaveLimiterHint : 1
; COMPUTE_PGM_RSRC2:SCRATCH_EN: 1
; COMPUTE_PGM_RSRC2:USER_SGPR: 6
; COMPUTE_PGM_RSRC2:TRAP_HANDLER: 0
; COMPUTE_PGM_RSRC2:TGID_X_EN: 1
; COMPUTE_PGM_RSRC2:TGID_Y_EN: 0
; COMPUTE_PGM_RSRC2:TGID_Z_EN: 0
; COMPUTE_PGM_RSRC2:TIDIG_COMP_CNT: 0
; COMPUTE_PGM_RSRC3_GFX90A:ACCUM_OFFSET: 63
; COMPUTE_PGM_RSRC3_GFX90A:TG_SPLIT: 0
	.text
	.p2alignl 6, 3212836864
	.fill 256, 4, 3212836864
	.type	__hip_cuid_f84464ab36a985cf,@object ; @__hip_cuid_f84464ab36a985cf
	.section	.bss,"aw",@nobits
	.globl	__hip_cuid_f84464ab36a985cf
__hip_cuid_f84464ab36a985cf:
	.byte	0                               ; 0x0
	.size	__hip_cuid_f84464ab36a985cf, 1

	.ident	"AMD clang version 19.0.0git (https://github.com/RadeonOpenCompute/llvm-project roc-6.4.0 25133 c7fe45cf4b819c5991fe208aaa96edf142730f1d)"
	.section	".note.GNU-stack","",@progbits
	.addrsig
	.addrsig_sym __hip_cuid_f84464ab36a985cf
	.amdgpu_metadata
---
amdhsa.kernels:
  - .agpr_count:     256
    .args:
      - .actual_access:  read_only
        .address_space:  global
        .offset:         0
        .size:           8
        .value_kind:     global_buffer
      - .actual_access:  read_only
        .address_space:  global
        .offset:         8
        .size:           8
        .value_kind:     global_buffer
      - .actual_access:  read_only
        .address_space:  global
        .offset:         16
        .size:           8
        .value_kind:     global_buffer
      - .actual_access:  read_only
        .address_space:  global
        .offset:         24
        .size:           8
        .value_kind:     global_buffer
      - .actual_access:  read_only
        .address_space:  global
        .offset:         32
        .size:           8
        .value_kind:     global_buffer
      - .offset:         40
        .size:           8
        .value_kind:     by_value
      - .address_space:  global
        .offset:         48
        .size:           8
        .value_kind:     global_buffer
      - .address_space:  global
        .offset:         56
        .size:           8
        .value_kind:     global_buffer
      - .address_space:  global
        .offset:         64
        .size:           8
        .value_kind:     global_buffer
      - .address_space:  global
        .offset:         72
        .size:           8
        .value_kind:     global_buffer
      - .offset:         80
        .size:           4
        .value_kind:     by_value
      - .address_space:  global
        .offset:         88
        .size:           8
        .value_kind:     global_buffer
      - .address_space:  global
        .offset:         96
        .size:           8
        .value_kind:     global_buffer
    .group_segment_fixed_size: 28560
    .kernarg_segment_align: 8
    .kernarg_segment_size: 104
    .language:       OpenCL C
    .language_version:
      - 2
      - 0
    .max_flat_workgroup_size: 51
    .name:           bluestein_single_back_len595_dim1_dp_op_CI_CI
    .private_segment_fixed_size: 896
    .sgpr_count:     68
    .sgpr_spill_count: 0
    .symbol:         bluestein_single_back_len595_dim1_dp_op_CI_CI.kd
    .uniform_work_group_size: 1
    .uses_dynamic_stack: false
    .vgpr_count:     512
    .vgpr_spill_count: 223
    .wavefront_size: 64
amdhsa.target:   amdgcn-amd-amdhsa--gfx90a
amdhsa.version:
  - 1
  - 2
...

	.end_amdgpu_metadata
